;; amdgpu-corpus repo=ROCm/rocFFT kind=compiled arch=gfx1030 opt=O3
	.text
	.amdgcn_target "amdgcn-amd-amdhsa--gfx1030"
	.amdhsa_code_object_version 6
	.protected	bluestein_single_back_len1989_dim1_half_op_CI_CI ; -- Begin function bluestein_single_back_len1989_dim1_half_op_CI_CI
	.globl	bluestein_single_back_len1989_dim1_half_op_CI_CI
	.p2align	8
	.type	bluestein_single_back_len1989_dim1_half_op_CI_CI,@function
bluestein_single_back_len1989_dim1_half_op_CI_CI: ; @bluestein_single_back_len1989_dim1_half_op_CI_CI
; %bb.0:
	s_load_dwordx4 s[0:3], s[4:5], 0x28
	v_mul_u32_u24_e32 v1, 0x1ad, v0
	v_mov_b32_e32 v29, 0
	v_lshrrev_b32_e32 v1, 16, v1
	v_add_nc_u32_e32 v28, s6, v1
	s_waitcnt lgkmcnt(0)
	v_cmp_gt_u64_e32 vcc_lo, s[0:1], v[28:29]
	s_and_saveexec_b32 s0, vcc_lo
	s_cbranch_execz .LBB0_23
; %bb.1:
	s_clause 0x1
	s_load_dwordx2 s[12:13], s[4:5], 0x0
	s_load_dwordx2 s[14:15], s[4:5], 0x38
	v_mul_lo_u16 v1, 0x99, v1
	v_sub_nc_u16 v0, v0, v1
	v_and_b32_e32 v50, 0xffff, v0
	v_cmp_gt_u16_e32 vcc_lo, 0x75, v0
	v_lshlrev_b32_e32 v49, 2, v50
	s_and_saveexec_b32 s1, vcc_lo
	s_cbranch_execz .LBB0_3
; %bb.2:
	s_load_dwordx2 s[6:7], s[4:5], 0x18
	s_waitcnt lgkmcnt(0)
	v_add_co_u32 v8, s0, s12, v49
	v_add_co_ci_u32_e64 v9, null, s13, 0, s0
	v_add_nc_u32_e32 v37, 0x600, v49
	v_add_nc_u32_e32 v38, 0xa00, v49
	;; [unrolled: 1-line block ×4, first 2 shown]
	s_load_dwordx4 s[8:11], s[6:7], 0x0
	s_clause 0x4
	global_load_dword v10, v49, s[12:13]
	global_load_dword v11, v49, s[12:13] offset:468
	global_load_dword v12, v49, s[12:13] offset:936
	;; [unrolled: 1-line block ×4, first 2 shown]
	s_waitcnt lgkmcnt(0)
	v_mad_u64_u32 v[0:1], null, s10, v28, 0
	v_mad_u64_u32 v[2:3], null, s8, v50, 0
	s_mul_i32 s6, s9, 0x1d4
	s_mul_hi_u32 s7, s8, 0x1d4
	v_mad_u64_u32 v[4:5], null, s11, v28, v[1:2]
	v_mad_u64_u32 v[5:6], null, s9, v50, v[3:4]
	v_mov_b32_e32 v1, v4
	v_add_co_u32 v4, s0, 0x800, v8
	v_lshlrev_b64 v[0:1], 2, v[0:1]
	v_mov_b32_e32 v3, v5
	v_add_co_ci_u32_e64 v5, s0, 0, v9, s0
	v_lshlrev_b64 v[2:3], 2, v[2:3]
	v_add_co_u32 v0, s0, s2, v0
	v_add_co_ci_u32_e64 v1, s0, s3, v1, s0
	s_mul_i32 s2, s8, 0x1d4
	v_add_co_u32 v0, s0, v0, v2
	v_add_co_ci_u32_e64 v1, s0, v1, v3, s0
	s_add_i32 s3, s7, s6
	v_add_co_u32 v2, s0, v0, s2
	v_add_co_ci_u32_e64 v3, s0, s3, v1, s0
	s_clause 0x1
	global_load_dword v15, v[0:1], off
	global_load_dword v16, v[2:3], off
	v_add_co_u32 v0, s0, v2, s2
	v_add_co_ci_u32_e64 v1, s0, s3, v3, s0
	v_add_co_u32 v2, s0, v0, s2
	v_add_co_ci_u32_e64 v3, s0, s3, v1, s0
	global_load_dword v17, v[0:1], off
	v_add_co_u32 v0, s0, v2, s2
	v_add_co_ci_u32_e64 v1, s0, s3, v3, s0
	v_add_co_u32 v6, s0, 0x1000, v8
	v_add_co_ci_u32_e64 v7, s0, 0, v9, s0
	s_clause 0x1
	global_load_dword v18, v[2:3], off
	global_load_dword v19, v[0:1], off
	v_add_co_u32 v0, s0, v0, s2
	v_add_co_ci_u32_e64 v1, s0, s3, v1, s0
	s_clause 0x3
	global_load_dword v20, v[4:5], off offset:292
	global_load_dword v21, v[4:5], off offset:760
	;; [unrolled: 1-line block ×4, first 2 shown]
	v_add_co_u32 v2, s0, v0, s2
	v_add_co_ci_u32_e64 v3, s0, s3, v1, s0
	global_load_dword v24, v[0:1], off
	v_add_co_u32 v0, s0, v2, s2
	v_add_co_ci_u32_e64 v1, s0, s3, v3, s0
	global_load_dword v25, v[2:3], off
	;; [unrolled: 3-line block ×4, first 2 shown]
	v_add_co_u32 v2, s0, v0, s2
	v_add_co_ci_u32_e64 v3, s0, s3, v1, s0
	v_add_co_u32 v4, s0, 0x1800, v8
	v_add_co_ci_u32_e64 v5, s0, 0, v9, s0
	global_load_dword v8, v[6:7], off offset:116
	global_load_dword v9, v[0:1], off
	global_load_dword v29, v[2:3], off
	v_add_co_u32 v0, s0, v2, s2
	v_add_co_ci_u32_e64 v1, s0, s3, v3, s0
	s_clause 0x3
	global_load_dword v30, v[6:7], off offset:584
	global_load_dword v31, v[6:7], off offset:1052
	;; [unrolled: 1-line block ×4, first 2 shown]
	v_add_co_u32 v2, s0, v0, s2
	v_add_co_ci_u32_e64 v3, s0, s3, v1, s0
	global_load_dword v7, v[0:1], off
	v_add_co_u32 v0, s0, v2, s2
	v_add_co_ci_u32_e64 v1, s0, s3, v3, s0
	global_load_dword v33, v[2:3], off
	;; [unrolled: 3-line block ×4, first 2 shown]
	v_add_co_u32 v2, s0, v0, s2
	v_add_co_ci_u32_e64 v3, s0, s3, v1, s0
	global_load_dword v36, v[4:5], off offset:408
	global_load_dword v0, v[0:1], off
	global_load_dword v1, v[2:3], off
	s_clause 0x1
	global_load_dword v2, v[4:5], off offset:876
	global_load_dword v3, v[4:5], off offset:1344
	v_add_nc_u32_e32 v4, 0x200, v49
	s_waitcnt vmcnt(28)
	v_lshrrev_b32_e32 v5, 16, v15
	v_mul_f16_sdwa v40, v10, v15 dst_sel:DWORD dst_unused:UNUSED_PAD src0_sel:WORD_1 src1_sel:DWORD
	s_waitcnt vmcnt(27)
	v_lshrrev_b32_e32 v42, 16, v16
	v_mul_f16_sdwa v44, v11, v16 dst_sel:DWORD dst_unused:UNUSED_PAD src0_sel:WORD_1 src1_sel:DWORD
	v_mul_f16_sdwa v41, v10, v5 dst_sel:DWORD dst_unused:UNUSED_PAD src0_sel:WORD_1 src1_sel:DWORD
	v_fma_f16 v5, v10, v5, -v40
	v_fma_f16 v40, v11, v42, -v44
	v_fmac_f16_e32 v41, v10, v15
	v_mul_f16_sdwa v10, v11, v42 dst_sel:DWORD dst_unused:UNUSED_PAD src0_sel:WORD_1 src1_sel:DWORD
	s_waitcnt vmcnt(26)
	v_lshrrev_b32_e32 v15, 16, v17
	v_mul_f16_sdwa v42, v12, v17 dst_sel:DWORD dst_unused:UNUSED_PAD src0_sel:WORD_1 src1_sel:DWORD
	v_pack_b32_f16 v5, v41, v5
	v_fmac_f16_e32 v10, v11, v16
	v_mul_f16_sdwa v11, v12, v15 dst_sel:DWORD dst_unused:UNUSED_PAD src0_sel:WORD_1 src1_sel:DWORD
	v_fma_f16 v15, v12, v15, -v42
	s_waitcnt vmcnt(25)
	v_lshrrev_b32_e32 v16, 16, v18
	v_mul_f16_sdwa v41, v13, v18 dst_sel:DWORD dst_unused:UNUSED_PAD src0_sel:WORD_1 src1_sel:DWORD
	v_pack_b32_f16 v10, v10, v40
	v_fmac_f16_e32 v11, v12, v17
	s_waitcnt vmcnt(24)
	v_lshrrev_b32_e32 v17, 16, v19
	v_mul_f16_sdwa v12, v13, v16 dst_sel:DWORD dst_unused:UNUSED_PAD src0_sel:WORD_1 src1_sel:DWORD
	v_fma_f16 v16, v13, v16, -v41
	v_mul_f16_sdwa v40, v14, v19 dst_sel:DWORD dst_unused:UNUSED_PAD src0_sel:WORD_1 src1_sel:DWORD
	ds_write2_b32 v49, v5, v10 offset1:117
	v_pack_b32_f16 v5, v11, v15
	v_fmac_f16_e32 v12, v13, v18
	v_mul_f16_sdwa v10, v14, v17 dst_sel:DWORD dst_unused:UNUSED_PAD src0_sel:WORD_1 src1_sel:DWORD
	s_waitcnt vmcnt(19)
	v_lshrrev_b32_e32 v11, 16, v24
	v_mul_f16_sdwa v13, v20, v24 dst_sel:DWORD dst_unused:UNUSED_PAD src0_sel:WORD_1 src1_sel:DWORD
	v_fma_f16 v15, v14, v17, -v40
	v_pack_b32_f16 v12, v12, v16
	v_fmac_f16_e32 v10, v14, v19
	v_mul_f16_sdwa v14, v20, v11 dst_sel:DWORD dst_unused:UNUSED_PAD src0_sel:WORD_1 src1_sel:DWORD
	v_fma_f16 v11, v20, v11, -v13
	s_waitcnt vmcnt(18)
	v_lshrrev_b32_e32 v13, 16, v25
	v_mul_f16_sdwa v16, v21, v25 dst_sel:DWORD dst_unused:UNUSED_PAD src0_sel:WORD_1 src1_sel:DWORD
	ds_write2_b32 v4, v5, v12 offset0:106 offset1:223
	v_pack_b32_f16 v4, v10, v15
	v_fmac_f16_e32 v14, v20, v24
	v_mul_f16_sdwa v5, v21, v13 dst_sel:DWORD dst_unused:UNUSED_PAD src0_sel:WORD_1 src1_sel:DWORD
	s_waitcnt vmcnt(17)
	v_lshrrev_b32_e32 v10, 16, v26
	v_mul_f16_sdwa v12, v22, v26 dst_sel:DWORD dst_unused:UNUSED_PAD src0_sel:WORD_1 src1_sel:DWORD
	v_fma_f16 v13, v21, v13, -v16
	v_pack_b32_f16 v11, v14, v11
	v_fmac_f16_e32 v5, v21, v25
	v_mul_f16_sdwa v14, v22, v10 dst_sel:DWORD dst_unused:UNUSED_PAD src0_sel:WORD_1 src1_sel:DWORD
	v_fma_f16 v10, v22, v10, -v12
	s_waitcnt vmcnt(16)
	v_lshrrev_b32_e32 v12, 16, v27
	v_mul_f16_sdwa v15, v23, v27 dst_sel:DWORD dst_unused:UNUSED_PAD src0_sel:WORD_1 src1_sel:DWORD
	ds_write2_b32 v37, v4, v11 offset0:84 offset1:201
	v_pack_b32_f16 v4, v5, v13
	v_fmac_f16_e32 v14, v22, v26
	v_mul_f16_sdwa v5, v23, v12 dst_sel:DWORD dst_unused:UNUSED_PAD src0_sel:WORD_1 src1_sel:DWORD
	s_waitcnt vmcnt(14)
	v_lshrrev_b32_e32 v11, 16, v9
	v_mul_f16_sdwa v13, v8, v9 dst_sel:DWORD dst_unused:UNUSED_PAD src0_sel:WORD_1 src1_sel:DWORD
	v_fma_f16 v12, v23, v12, -v15
	v_pack_b32_f16 v10, v14, v10
	v_fmac_f16_e32 v5, v23, v27
	v_mul_f16_sdwa v14, v8, v11 dst_sel:DWORD dst_unused:UNUSED_PAD src0_sel:WORD_1 src1_sel:DWORD
	v_fma_f16 v11, v8, v11, -v13
	s_waitcnt vmcnt(13)
	v_lshrrev_b32_e32 v13, 16, v29
	s_waitcnt vmcnt(12)
	v_mul_f16_sdwa v15, v30, v29 dst_sel:DWORD dst_unused:UNUSED_PAD src0_sel:WORD_1 src1_sel:DWORD
	ds_write2_b32 v38, v4, v10 offset0:62 offset1:179
	v_pack_b32_f16 v4, v5, v12
	v_fmac_f16_e32 v14, v8, v9
	v_mul_f16_sdwa v5, v30, v13 dst_sel:DWORD dst_unused:UNUSED_PAD src0_sel:WORD_1 src1_sel:DWORD
	s_waitcnt vmcnt(8)
	v_lshrrev_b32_e32 v8, 16, v7
	v_fma_f16 v9, v30, v13, -v15
	v_mul_f16_sdwa v10, v31, v7 dst_sel:DWORD dst_unused:UNUSED_PAD src0_sel:WORD_1 src1_sel:DWORD
	s_waitcnt vmcnt(7)
	v_lshrrev_b32_e32 v13, 16, v33
	v_fmac_f16_e32 v5, v30, v29
	v_mul_f16_sdwa v12, v31, v8 dst_sel:DWORD dst_unused:UNUSED_PAD src0_sel:WORD_1 src1_sel:DWORD
	v_pack_b32_f16 v11, v14, v11
	v_fma_f16 v8, v31, v8, -v10
	v_mul_f16_sdwa v10, v32, v33 dst_sel:DWORD dst_unused:UNUSED_PAD src0_sel:WORD_1 src1_sel:DWORD
	v_pack_b32_f16 v5, v5, v9
	v_fmac_f16_e32 v12, v31, v7
	v_mul_f16_sdwa v7, v32, v13 dst_sel:DWORD dst_unused:UNUSED_PAD src0_sel:WORD_1 src1_sel:DWORD
	s_waitcnt vmcnt(6)
	v_lshrrev_b32_e32 v9, 16, v34
	v_fma_f16 v10, v32, v13, -v10
	v_mul_f16_sdwa v13, v6, v34 dst_sel:DWORD dst_unused:UNUSED_PAD src0_sel:WORD_1 src1_sel:DWORD
	v_pack_b32_f16 v8, v12, v8
	v_fmac_f16_e32 v7, v32, v33
	v_mul_f16_sdwa v12, v6, v9 dst_sel:DWORD dst_unused:UNUSED_PAD src0_sel:WORD_1 src1_sel:DWORD
	s_waitcnt vmcnt(5)
	v_lshrrev_b32_e32 v14, 16, v35
	v_fma_f16 v9, v6, v9, -v13
	s_waitcnt vmcnt(4)
	v_mul_f16_sdwa v13, v36, v35 dst_sel:DWORD dst_unused:UNUSED_PAD src0_sel:WORD_1 src1_sel:DWORD
	v_pack_b32_f16 v7, v7, v10
	v_fmac_f16_e32 v12, v6, v34
	s_waitcnt vmcnt(3)
	v_lshrrev_b32_e32 v10, 16, v0
	s_waitcnt vmcnt(2)
	v_lshrrev_b32_e32 v15, 16, v1
	v_mul_f16_sdwa v6, v36, v14 dst_sel:DWORD dst_unused:UNUSED_PAD src0_sel:WORD_1 src1_sel:DWORD
	v_fma_f16 v13, v36, v14, -v13
	s_waitcnt vmcnt(1)
	v_mul_f16_sdwa v14, v2, v0 dst_sel:DWORD dst_unused:UNUSED_PAD src0_sel:WORD_1 src1_sel:DWORD
	v_pack_b32_f16 v9, v12, v9
	v_mul_f16_sdwa v12, v2, v10 dst_sel:DWORD dst_unused:UNUSED_PAD src0_sel:WORD_1 src1_sel:DWORD
	s_waitcnt vmcnt(0)
	v_mul_f16_sdwa v16, v3, v15 dst_sel:DWORD dst_unused:UNUSED_PAD src0_sel:WORD_1 src1_sel:DWORD
	v_mul_f16_sdwa v17, v3, v1 dst_sel:DWORD dst_unused:UNUSED_PAD src0_sel:WORD_1 src1_sel:DWORD
	v_fmac_f16_e32 v6, v36, v35
	v_fma_f16 v10, v2, v10, -v14
	v_fmac_f16_e32 v12, v2, v0
	v_fmac_f16_e32 v16, v3, v1
	v_fma_f16 v0, v3, v15, -v17
	v_add_nc_u32_e32 v1, 0x1400, v49
	v_pack_b32_f16 v2, v6, v13
	v_pack_b32_f16 v3, v12, v10
	v_add_nc_u32_e32 v6, 0x1800, v49
	v_pack_b32_f16 v0, v16, v0
	ds_write2_b32 v39, v4, v11 offset0:40 offset1:157
	ds_write2_b32 v43, v5, v8 offset0:18 offset1:135
	;; [unrolled: 1-line block ×4, first 2 shown]
	ds_write_b32 v49, v0 offset:7488
.LBB0_3:
	s_or_b32 exec_lo, exec_lo, s1
	s_clause 0x1
	s_load_dwordx2 s[0:1], s[4:5], 0x20
	s_load_dwordx2 s[2:3], s[4:5], 0x8
	v_mov_b32_e32 v4, 0
	s_waitcnt lgkmcnt(0)
	s_barrier
	buffer_gl0_inv
                                        ; implicit-def: $vgpr16
                                        ; implicit-def: $vgpr1
                                        ; implicit-def: $vgpr3
                                        ; implicit-def: $vgpr7
                                        ; implicit-def: $vgpr9
                                        ; implicit-def: $vgpr13
                                        ; implicit-def: $vgpr11
                                        ; implicit-def: $vgpr15
                                        ; implicit-def: $vgpr38
	s_and_saveexec_b32 s4, vcc_lo
	s_cbranch_execz .LBB0_5
; %bb.4:
	v_add_nc_u32_e32 v0, 0x200, v49
	v_add_nc_u32_e32 v1, 0x600, v49
	;; [unrolled: 1-line block ×3, first 2 shown]
	ds_read2_b32 v[4:5], v49 offset1:117
	v_add_nc_u32_e32 v3, 0x1400, v49
	ds_read2_b32 v[14:15], v0 offset0:106 offset1:223
	ds_read2_b32 v[10:11], v1 offset0:84 offset1:201
	v_add_nc_u32_e32 v0, 0xe00, v49
	v_add_nc_u32_e32 v1, 0x1200, v49
	v_add_nc_u32_e32 v16, 0x1800, v49
	ds_read2_b32 v[12:13], v2 offset0:62 offset1:179
	ds_read2_b32 v[8:9], v0 offset0:40 offset1:157
	;; [unrolled: 1-line block ×5, first 2 shown]
	ds_read_b32 v16, v49 offset:7488
	s_waitcnt lgkmcnt(7)
	v_alignbit_b32 v38, v14, v14, 16
.LBB0_5:
	s_or_b32 exec_lo, exec_lo, s4
	s_waitcnt lgkmcnt(0)
	v_pk_add_f16 v14, v5, v16 neg_lo:[0,1] neg_hi:[0,1]
	v_mov_b32_e32 v113, 0xbb29
	v_pk_add_f16 v18, v16, v5
	v_mov_b32_e32 v103, 0xbbf7
	v_pk_add_f16 v17, v1, v38 op_sel:[1,0] op_sel_hi:[0,1]
	v_pk_add_f16 v20, v38, v1 op_sel:[1,0] op_sel_hi:[0,1] neg_lo:[0,1] neg_hi:[0,1]
	v_mul_f16_sdwa v39, v14, v113 dst_sel:DWORD dst_unused:UNUSED_PAD src0_sel:WORD_1 src1_sel:DWORD
	v_mov_b32_e32 v119, 0xba62
	v_mul_f16_sdwa v52, v14, v103 dst_sel:DWORD dst_unused:UNUSED_PAD src0_sel:WORD_1 src1_sel:DWORD
	v_lshrrev_b32_e32 v46, 16, v17
	v_mov_b32_e32 v102, 0xb1e1
	v_fmamk_f16 v19, v18, 0x3722, v39
	v_mul_f16_sdwa v41, v20, v119 dst_sel:DWORD dst_unused:UNUSED_PAD src0_sel:WORD_1 src1_sel:DWORD
	v_fmamk_f16 v21, v18, 0x2de8, v52
	v_mov_b32_e32 v23, 0x31e1
	v_mul_f16_sdwa v55, v20, v102 dst_sel:DWORD dst_unused:UNUSED_PAD src0_sel:WORD_1 src1_sel:DWORD
	v_add_f16_e32 v22, v19, v4
	v_pk_add_f16 v19, v15, v0 neg_lo:[0,1] neg_hi:[0,1]
	v_fmamk_f16 v25, v46, 0xb8d2, v41
	v_add_f16_e32 v24, v21, v4
	v_pk_add_f16 v21, v0, v15
	v_mov_b32_e32 v122, 0x3bb2
	v_mul_f16_sdwa v43, v19, v23 dst_sel:DWORD dst_unused:UNUSED_PAD src0_sel:WORD_1 src1_sel:DWORD
	v_add_f16_e32 v25, v25, v22
	v_pk_add_f16 v22, v10, v3 neg_lo:[0,1] neg_hi:[0,1]
	v_fmamk_f16 v26, v46, 0xbbdd, v55
	v_mul_f16_sdwa v56, v19, v122 dst_sel:DWORD dst_unused:UNUSED_PAD src0_sel:WORD_1 src1_sel:DWORD
	v_fmamk_f16 v27, v21, 0xbbdd, v43
	v_pk_add_f16 v23, v3, v10
	v_mov_b32_e32 v29, 0x35c8
	v_mul_f16_sdwa v40, v22, v122 dst_sel:DWORD dst_unused:UNUSED_PAD src0_sel:WORD_1 src1_sel:DWORD
	v_add_f16_e32 v26, v26, v24
	v_add_f16_e32 v25, v27, v25
	v_fmamk_f16 v27, v21, 0xb461, v56
	v_mul_f16_sdwa v59, v22, v29 dst_sel:DWORD dst_unused:UNUSED_PAD src0_sel:WORD_1 src1_sel:DWORD
	v_fmamk_f16 v29, v23, 0xb461, v40
	v_pk_add_f16 v24, v11, v2 neg_lo:[0,1] neg_hi:[0,1]
	v_mov_b32_e32 v116, 0x3964
	v_add_f16_e32 v26, v27, v26
	v_fmamk_f16 v27, v23, 0x3b76, v59
	v_add_f16_e32 v29, v29, v25
	v_pk_add_f16 v25, v2, v11
	v_mul_f16_sdwa v44, v24, v116 dst_sel:DWORD dst_unused:UNUSED_PAD src0_sel:WORD_1 src1_sel:DWORD
	v_mov_b32_e32 v93, 0xb5c8
	v_mul_f16_sdwa v61, v24, v113 dst_sel:DWORD dst_unused:UNUSED_PAD src0_sel:WORD_1 src1_sel:DWORD
	v_add_f16_e32 v30, v27, v26
	v_pk_add_f16 v26, v12, v7 neg_lo:[0,1] neg_hi:[0,1]
	v_mov_b32_e32 v123, 0xb836
	v_fmamk_f16 v27, v25, 0x39e9, v44
	v_fmamk_f16 v31, v25, 0x3722, v61
	v_pk_add_f16 v33, v7, v12
	v_mul_f16_sdwa v45, v26, v93 dst_sel:DWORD dst_unused:UNUSED_PAD src0_sel:WORD_1 src1_sel:DWORD
	v_mul_f16_sdwa v63, v26, v123 dst_sel:DWORD dst_unused:UNUSED_PAD src0_sel:WORD_1 src1_sel:DWORD
	v_add_f16_e32 v29, v27, v29
	v_pk_add_f16 v27, v13, v6 neg_lo:[0,1] neg_hi:[0,1]
	v_mov_b32_e32 v125, 0x3a62
	v_add_f16_e32 v30, v31, v30
	v_fmamk_f16 v31, v33, 0x3b76, v45
	v_fmamk_f16 v32, v33, 0xbacd, v63
	v_pk_add_f16 v34, v6, v13
	v_mul_f16_sdwa v53, v27, v103 dst_sel:DWORD dst_unused:UNUSED_PAD src0_sel:WORD_1 src1_sel:DWORD
	v_mul_f16_sdwa v66, v27, v125 dst_sel:DWORD dst_unused:UNUSED_PAD src0_sel:WORD_1 src1_sel:DWORD
	v_pk_add_f16 v36, v8, v9 neg_lo:[0,1] neg_hi:[0,1]
	v_add_f16_e32 v29, v31, v29
	v_add_f16_e32 v30, v32, v30
	v_fmamk_f16 v31, v34, 0x2de8, v53
	v_fmamk_f16 v32, v34, 0xb8d2, v66
	v_pk_add_f16 v37, v9, v8
	v_mul_f16_sdwa v54, v36, v123 dst_sel:DWORD dst_unused:UNUSED_PAD src0_sel:WORD_1 src1_sel:DWORD
	v_mul_f16_sdwa v57, v14, v93 dst_sel:DWORD dst_unused:UNUSED_PAD src0_sel:WORD_1 src1_sel:DWORD
	v_add_f16_e32 v29, v31, v29
	v_add_f16_e32 v31, v32, v30
	v_mov_b32_e32 v127, 0xb964
	v_fmamk_f16 v30, v37, 0xbacd, v54
	v_mul_f16_sdwa v74, v36, v116 dst_sel:DWORD dst_unused:UNUSED_PAD src0_sel:WORD_1 src1_sel:DWORD
	v_lshrrev_b32_e32 v82, 16, v18
	v_mul_f16_e32 v68, 0xb964, v14
	v_mul_f16_sdwa v58, v20, v127 dst_sel:DWORD dst_unused:UNUSED_PAD src0_sel:WORD_1 src1_sel:DWORD
	v_add_f16_e32 v30, v30, v29
	v_fmamk_f16 v29, v18, 0x3b76, v57
	v_fmamk_f16 v35, v37, 0x39e9, v74
	v_mul_f16_e32 v81, 0xbb29, v14
	v_fma_f16 v32, v82, 0x39e9, -v68
	v_mul_f16_e32 v69, 0xbbf7, v20
	v_add_f16_e32 v42, v29, v4
	v_fmamk_f16 v47, v46, 0x39e9, v58
	v_add_f16_e32 v29, v35, v31
	v_mul_f16_e32 v111, 0xbbf7, v14
	v_fma_f16 v35, v82, 0x3722, -v81
	v_mul_f16_e32 v83, 0xba62, v20
	v_add_f16_sdwa v32, v32, v4 dst_sel:DWORD dst_unused:UNUSED_PAD src0_sel:DWORD src1_sel:WORD_1
	v_fma_f16 v48, v17, 0x2de8, -v69
	v_add_f16_e32 v31, v47, v42
	v_fma_f16 v42, v82, 0x2de8, -v111
	v_mul_f16_e32 v112, 0xb1e1, v20
	v_mul_f16_sdwa v60, v19, v113 dst_sel:DWORD dst_unused:UNUSED_PAD src0_sel:WORD_1 src1_sel:DWORD
	v_add_f16_sdwa v35, v35, v4 dst_sel:DWORD dst_unused:UNUSED_PAD src0_sel:DWORD src1_sel:WORD_1
	v_fma_f16 v47, v17, 0xb8d2, -v83
	v_lshrrev_b32_e32 v89, 16, v21
	v_mul_f16_e32 v65, 0xba62, v19
	v_add_f16_e32 v32, v48, v32
	v_add_f16_sdwa v42, v42, v4 dst_sel:DWORD dst_unused:UNUSED_PAD src0_sel:DWORD src1_sel:WORD_1
	v_fma_f16 v48, v17, 0xbbdd, -v112
	v_fmamk_f16 v51, v21, 0x3722, v60
	v_add_f16_e32 v35, v47, v35
	v_mul_f16_e32 v88, 0x31e1, v19
	v_fma_f16 v47, v89, 0xb8d2, -v65
	v_mul_f16_sdwa v62, v22, v103 dst_sel:DWORD dst_unused:UNUSED_PAD src0_sel:WORD_1 src1_sel:DWORD
	v_add_f16_e32 v42, v48, v42
	v_add_f16_e32 v31, v51, v31
	v_mul_f16_e32 v114, 0x3bb2, v19
	v_fma_f16 v48, v89, 0xbbdd, -v88
	v_lshrrev_b32_e32 v98, 16, v23
	v_mul_f16_e32 v70, 0xb1e1, v22
	v_add_f16_e32 v32, v47, v32
	v_fmamk_f16 v47, v23, 0x2de8, v62
	v_mul_f16_e32 v100, 0x3bb2, v22
	v_mov_b32_e32 v126, 0xbbb2
	v_fma_f16 v51, v89, 0xb461, -v114
	v_add_f16_e32 v35, v48, v35
	v_fma_f16 v48, v98, 0xbbdd, -v70
	v_add_f16_e32 v31, v47, v31
	v_mul_f16_e32 v117, 0x35c8, v22
	v_fma_f16 v47, v98, 0xb461, -v100
	v_mul_f16_sdwa v64, v24, v126 dst_sel:DWORD dst_unused:UNUSED_PAD src0_sel:WORD_1 src1_sel:DWORD
	v_add_f16_e32 v42, v51, v42
	v_add_f16_e32 v32, v48, v32
	v_lshrrev_b32_e32 v105, 16, v25
	v_mul_f16_e32 v72, 0x3836, v24
	v_fma_f16 v48, v98, 0x3b76, -v117
	v_mul_f16_e32 v104, 0x3964, v24
	v_add_f16_e32 v35, v47, v35
	v_fmamk_f16 v47, v25, 0xb461, v64
	v_mul_f16_e32 v115, 0xbb29, v24
	v_fma_f16 v51, v105, 0xbacd, -v72
	v_add_f16_e32 v42, v48, v42
	v_fma_f16 v48, v105, 0x39e9, -v104
	v_add_f16_e32 v31, v47, v31
	v_mul_f16_sdwa v67, v26, v119 dst_sel:DWORD dst_unused:UNUSED_PAD src0_sel:WORD_1 src1_sel:DWORD
	v_fma_f16 v47, v105, 0x3722, -v115
	v_lshrrev_b32_e32 v107, 16, v33
	v_mul_f16_e32 v73, 0x3bb2, v26
	v_add_f16_e32 v32, v51, v32
	v_add_f16_e32 v35, v48, v35
	v_fmamk_f16 v48, v33, 0xb8d2, v67
	v_mul_f16_e32 v106, 0xb5c8, v26
	v_mul_f16_e32 v118, 0xb836, v26
	v_add_f16_e32 v42, v47, v42
	v_fma_f16 v47, v107, 0xb461, -v73
	v_add_f16_e32 v31, v48, v31
	v_fma_f16 v48, v107, 0x3b76, -v106
	v_fma_f16 v51, v107, 0xbacd, -v118
	v_mul_f16_sdwa v71, v27, v123 dst_sel:DWORD dst_unused:UNUSED_PAD src0_sel:WORD_1 src1_sel:DWORD
	v_add_f16_e32 v32, v47, v32
	v_pk_mul_f16 v47, 0x3b7639e9, v18
	v_add_f16_e32 v35, v48, v35
	v_add_f16_e32 v42, v51, v42
	v_fmamk_f16 v48, v34, 0xbacd, v71
	v_pk_mul_f16 v51, 0xbbf7b964, v20
	v_pk_fma_f16 v75, 0xb964b5c8, v14, v47 op_sel:[0,0,1] op_sel_hi:[1,1,0]
	v_lshrrev_b32_e32 v110, 16, v34
	v_mul_f16_e32 v79, 0x3b29, v27
	v_add_f16_e32 v31, v48, v31
	v_pk_fma_f16 v76, 0x2de839e9, v17, v51
	v_add_f16_sdwa v48, v75, v4 dst_sel:DWORD dst_unused:UNUSED_PAD src0_sel:WORD_1 src1_sel:DWORD
	v_pk_mul_f16 v86, 0x3722b8d2, v21
	v_fma_f16 v78, v110, 0x3722, -v79
	v_mul_f16_e32 v95, 0xbbf7, v27
	v_mul_f16_e32 v121, 0x3a62, v27
	v_add_f16_sdwa v48, v76, v48 dst_sel:DWORD dst_unused:UNUSED_PAD src0_sel:WORD_1 src1_sel:DWORD
	v_pk_fma_f16 v77, 0xba62bb29, v19, v86 op_sel:[0,0,1] op_sel_hi:[1,1,0]
	v_pk_mul_f16 v91, 0x2de8bbdd, v23
	v_pk_fma_f16 v85, 0xb964b5c8, v14, v47 op_sel:[0,0,1] op_sel_hi:[1,1,0] neg_lo:[0,1,0] neg_hi:[0,1,0]
	v_add_f16_e32 v128, v78, v32
	v_fma_f16 v32, v110, 0x2de8, -v95
	v_fma_f16 v80, v110, 0xb8d2, -v121
	v_add_f16_sdwa v48, v77, v48 dst_sel:DWORD dst_unused:UNUSED_PAD src0_sel:WORD_1 src1_sel:DWORD
	v_pk_fma_f16 v78, 0xb1e1bbf7, v22, v91 op_sel:[0,0,1] op_sel_hi:[1,1,0]
	v_pk_mul_f16 v96, 0xb461bacd, v25
	v_pk_fma_f16 v90, 0x2de839e9, v17, v51 neg_lo:[0,0,1] neg_hi:[0,0,1]
	v_add_f16_sdwa v47, v85, v4 dst_sel:DWORD dst_unused:UNUSED_PAD src0_sel:DWORD src1_sel:WORD_1
	v_add_f16_e32 v129, v32, v35
	v_add_f16_e32 v42, v80, v42
	v_add_f16_sdwa v32, v78, v48 dst_sel:DWORD dst_unused:UNUSED_PAD src0_sel:WORD_1 src1_sel:DWORD
	v_pk_fma_f16 v84, 0x3836bbb2, v24, v96 op_sel:[0,0,1] op_sel_hi:[1,1,0]
	v_pk_mul_f16 v35, 0xb8d2b461, v33
	v_mul_f16_sdwa v80, v36, v102 dst_sel:DWORD dst_unused:UNUSED_PAD src0_sel:WORD_1 src1_sel:DWORD
	v_pk_fma_f16 v92, 0xba62bb29, v19, v86 op_sel:[0,0,1] op_sel_hi:[1,1,0] neg_lo:[0,1,0] neg_hi:[0,1,0]
	v_add_f16_e32 v47, v90, v47
	v_add_f16_sdwa v32, v84, v32 dst_sel:DWORD dst_unused:UNUSED_PAD src0_sel:WORD_1 src1_sel:DWORD
	v_pk_fma_f16 v87, 0x3bb2ba62, v26, v35 op_sel:[0,0,1] op_sel_hi:[1,1,0]
	v_fmamk_f16 v51, v37, 0xbbdd, v80
	v_pk_fma_f16 v94, 0xb1e1bbf7, v22, v91 op_sel:[0,0,1] op_sel_hi:[1,1,0] neg_lo:[0,1,0] neg_hi:[0,1,0]
	v_add_f16_e32 v47, v92, v47
	v_pk_mul_f16 v48, 0xbacd3722, v34
	v_add_f16_sdwa v97, v87, v32 dst_sel:DWORD dst_unused:UNUSED_PAD src0_sel:WORD_1 src1_sel:DWORD
	v_add_f16_e32 v32, v51, v31
	v_pk_fma_f16 v96, 0x3836bbb2, v24, v96 op_sel:[0,0,1] op_sel_hi:[1,1,0] neg_lo:[0,1,0] neg_hi:[0,1,0]
	v_add_f16_e32 v31, v94, v47
	v_pk_fma_f16 v86, 0x3b29b836, v27, v48 op_sel:[0,0,1] op_sel_hi:[1,1,0]
	v_pk_fma_f16 v101, 0x3bb2ba62, v26, v35 op_sel:[0,0,1] op_sel_hi:[1,1,0] neg_lo:[0,1,0] neg_hi:[0,1,0]
	v_pk_mul_f16 v99, 0xbbdd3b76, v37
	v_lshrrev_b32_e32 v120, 16, v37
	v_add_f16_e32 v31, v96, v31
	v_add_f16_sdwa v47, v86, v97 dst_sel:DWORD dst_unused:UNUSED_PAD src0_sel:WORD_1 src1_sel:DWORD
	v_mul_f16_e32 v108, 0x35c8, v36
	v_mul_f16_e32 v109, 0xb836, v36
	;; [unrolled: 1-line block ×3, first 2 shown]
	v_pk_fma_f16 v97, 0x3b29b836, v27, v48 op_sel:[0,0,1] op_sel_hi:[1,1,0] neg_lo:[0,1,0] neg_hi:[0,1,0]
	v_add_f16_e32 v31, v101, v31
	v_pk_fma_f16 v91, 0x35c8b1e1, v36, v99 op_sel:[0,0,1] op_sel_hi:[1,1,0]
	v_fma_f16 v35, v120, 0x3b76, -v108
	v_fma_f16 v48, v120, 0xbacd, -v109
	;; [unrolled: 1-line block ×3, first 2 shown]
	v_pk_fma_f16 v99, 0x35c8b1e1, v36, v99 op_sel:[0,0,1] op_sel_hi:[1,1,0] neg_lo:[0,1,0] neg_hi:[0,1,0]
	v_add_f16_e32 v130, v97, v31
	v_add_f16_sdwa v31, v91, v47 dst_sel:DWORD dst_unused:UNUSED_PAD src0_sel:WORD_1 src1_sel:DWORD
	v_add_f16_e32 v35, v35, v128
	v_add_f16_e32 v47, v48, v129
	;; [unrolled: 1-line block ×4, first 2 shown]
	v_mul_lo_u16 v51, v50, 17
	s_barrier
	buffer_gl0_inv
	s_and_saveexec_b32 s4, vcc_lo
	s_cbranch_execz .LBB0_7
; %bb.6:
	v_mul_f16_e32 v128, 0xb461, v82
	v_mov_b32_e32 v130, 0x3836
	v_mul_f16_sdwa v131, v14, v126 dst_sel:DWORD dst_unused:UNUSED_PAD src0_sel:WORD_1 src1_sel:DWORD
	v_mul_f16_e32 v129, 0xbacd, v17
	v_mul_f16_e32 v132, 0x39e9, v89
	v_fmamk_f16 v133, v14, 0x3bb2, v128
	v_mul_f16_sdwa v130, v20, v130 dst_sel:DWORD dst_unused:UNUSED_PAD src0_sel:WORD_1 src1_sel:DWORD
	v_fmamk_f16 v136, v18, 0xb461, v131
	v_mul_f16_sdwa v134, v19, v116 dst_sel:DWORD dst_unused:UNUSED_PAD src0_sel:WORD_1 src1_sel:DWORD
	v_fmamk_f16 v135, v20, 0xb836, v129
	v_add_f16_sdwa v133, v133, v4 dst_sel:DWORD dst_unused:UNUSED_PAD src0_sel:DWORD src1_sel:WORD_1
	v_fmamk_f16 v139, v46, 0xbacd, v130
	v_add_f16_e32 v136, v136, v4
	v_mul_f16_e32 v137, 0x3722, v98
	v_fmamk_f16 v138, v19, 0xb964, v132
	v_add_f16_e32 v133, v135, v133
	v_mul_f16_sdwa v135, v22, v113 dst_sel:DWORD dst_unused:UNUSED_PAD src0_sel:WORD_1 src1_sel:DWORD
	v_fmamk_f16 v113, v21, 0x39e9, v134
	v_add_f16_e32 v136, v139, v136
	v_fmamk_f16 v140, v22, 0x3b29, v137
	v_add_f16_e32 v133, v138, v133
	v_mul_f16_e32 v138, 0xbbdd, v105
	v_mul_f16_sdwa v139, v24, v102 dst_sel:DWORD dst_unused:UNUSED_PAD src0_sel:WORD_1 src1_sel:DWORD
	v_fmamk_f16 v141, v23, 0x3722, v135
	v_add_f16_e32 v113, v113, v136
	v_mov_b32_e32 v136, 0x3bf7
	v_add_f16_e32 v133, v140, v133
	v_fmamk_f16 v140, v24, 0x31e1, v138
	v_mul_f16_e32 v142, 0x2de8, v107
	v_add_f16_e32 v113, v141, v113
	v_fmamk_f16 v141, v25, 0xbbdd, v139
	v_mul_f16_sdwa v143, v26, v136 dst_sel:DWORD dst_unused:UNUSED_PAD src0_sel:WORD_1 src1_sel:DWORD
	v_add_f16_e32 v133, v140, v133
	v_fmamk_f16 v140, v26, 0xbbf7, v142
	v_mul_f16_e32 v144, 0x3b76, v110
	v_add_f16_e32 v113, v141, v113
	v_fmamk_f16 v141, v33, 0x2de8, v143
	v_mul_f16_e32 v145, 0xb8d2, v82
	;; [unrolled: 3-line block ×4, first 2 shown]
	v_add_f16_e32 v133, v140, v133
	v_fmamk_f16 v140, v36, 0x3a62, v146
	v_mul_f16_sdwa v148, v27, v93 dst_sel:DWORD dst_unused:UNUSED_PAD src0_sel:WORD_1 src1_sel:DWORD
	v_add_f16_sdwa v149, v113, v4 dst_sel:DWORD dst_unused:UNUSED_PAD src0_sel:DWORD src1_sel:WORD_1
	v_fmamk_f16 v150, v20, 0xbbb2, v147
	v_mul_f16_e32 v151, 0x3b76, v89
	v_add_f16_e32 v113, v140, v133
	v_fmamk_f16 v133, v34, 0x3b76, v148
	v_mul_f16_sdwa v140, v36, v119 dst_sel:DWORD dst_unused:UNUSED_PAD src0_sel:WORD_1 src1_sel:DWORD
	v_add_f16_e32 v149, v150, v149
	v_fmamk_f16 v150, v19, 0x35c8, v151
	v_mul_f16_e32 v152, 0xbacd, v98
	v_add_f16_e32 v133, v133, v141
	v_fmamk_f16 v141, v37, 0xb8d2, v140
	v_mul_f16_sdwa v153, v14, v119 dst_sel:DWORD dst_unused:UNUSED_PAD src0_sel:WORD_1 src1_sel:DWORD
	v_add_f16_e32 v149, v150, v149
	;; [unrolled: 6-line block ×7, first 2 shown]
	v_fmamk_f16 v149, v14, 0x3836, v160
	v_mul_f16_e32 v161, 0x3722, v17
	v_add_f16_e32 v133, v155, v133
	v_fmamk_f16 v155, v33, 0x39e9, v127
	v_mul_f16_sdwa v162, v27, v102 dst_sel:DWORD dst_unused:UNUSED_PAD src0_sel:WORD_1 src1_sel:DWORD
	v_add_f16_sdwa v149, v149, v4 dst_sel:DWORD dst_unused:UNUSED_PAD src0_sel:DWORD src1_sel:WORD_1
	v_fmamk_f16 v163, v20, 0xbb29, v161
	v_mul_f16_e32 v164, 0x2de8, v89
	v_add_f16_e32 v133, v155, v133
	v_fmamk_f16 v155, v34, 0xbbdd, v162
	v_mov_b32_e32 v165, 0x3b29
	v_add_f16_e32 v149, v163, v149
	v_fmamk_f16 v163, v19, 0x3bf7, v164
	v_mul_f16_e32 v166, 0xb8d2, v98
	v_mul_f16_sdwa v123, v14, v123 dst_sel:DWORD dst_unused:UNUSED_PAD src0_sel:WORD_1 src1_sel:DWORD
	v_add_f16_e32 v133, v155, v133
	v_mul_f16_sdwa v155, v36, v165 dst_sel:DWORD dst_unused:UNUSED_PAD src0_sel:WORD_1 src1_sel:DWORD
	v_add_f16_e32 v149, v163, v149
	v_fmamk_f16 v163, v22, 0xba62, v166
	v_mul_f16_e32 v167, 0x3b76, v105
	v_fmamk_f16 v169, v18, 0xbacd, v123
	v_mul_f16_sdwa v165, v20, v165 dst_sel:DWORD dst_unused:UNUSED_PAD src0_sel:WORD_1 src1_sel:DWORD
	v_mul_f16_e32 v170, 0xbbdd, v107
	v_add_f16_e32 v149, v163, v149
	v_fmamk_f16 v163, v24, 0x35c8, v167
	v_add_f16_e32 v169, v169, v4
	v_fmamk_f16 v171, v46, 0x3722, v165
	v_mul_f16_sdwa v172, v19, v103 dst_sel:DWORD dst_unused:UNUSED_PAD src0_sel:WORD_1 src1_sel:DWORD
	v_fmamk_f16 v168, v37, 0x3722, v155
	v_add_f16_e32 v103, v163, v149
	v_fmamk_f16 v149, v26, 0x31e1, v170
	v_mul_f16_e32 v163, 0x39e9, v110
	v_add_f16_e32 v169, v171, v169
	v_fmamk_f16 v171, v21, 0x2de8, v172
	v_mul_f16_sdwa v125, v22, v125 dst_sel:DWORD dst_unused:UNUSED_PAD src0_sel:WORD_1 src1_sel:DWORD
	v_add_f16_e32 v149, v149, v103
	v_fmamk_f16 v173, v27, 0xb964, v163
	v_add_f16_e32 v103, v168, v133
	v_add_f16_e32 v133, v171, v169
	v_fmamk_f16 v168, v23, 0xb8d2, v125
	v_mul_f16_sdwa v169, v24, v93 dst_sel:DWORD dst_unused:UNUSED_PAD src0_sel:WORD_1 src1_sel:DWORD
	v_add_f16_e32 v93, v173, v149
	v_mul_f16_e32 v149, 0xb461, v120
	v_fmac_f16_e32 v160, 0xb836, v14
	v_add_f16_e32 v133, v168, v133
	v_fmamk_f16 v168, v25, 0x3b76, v169
	v_mul_f16_sdwa v171, v26, v102 dst_sel:DWORD dst_unused:UNUSED_PAD src0_sel:WORD_1 src1_sel:DWORD
	v_fmamk_f16 v102, v36, 0x3bb2, v149
	v_add_f16_sdwa v160, v160, v4 dst_sel:DWORD dst_unused:UNUSED_PAD src0_sel:DWORD src1_sel:WORD_1
	v_fmac_f16_e32 v161, 0x3b29, v20
	v_add_f16_e32 v133, v168, v133
	v_fmamk_f16 v168, v33, 0xbbdd, v171
	v_mul_f16_sdwa v116, v27, v116 dst_sel:DWORD dst_unused:UNUSED_PAD src0_sel:WORD_1 src1_sel:DWORD
	v_add_f16_e32 v93, v102, v93
	v_add_f16_e32 v102, v161, v160
	v_fmac_f16_e32 v164, 0xbbf7, v19
	v_add_f16_e32 v133, v168, v133
	v_fmamk_f16 v160, v34, 0x39e9, v116
	v_mul_f16_sdwa v126, v36, v126 dst_sel:DWORD dst_unused:UNUSED_PAD src0_sel:WORD_1 src1_sel:DWORD
	v_fma_f16 v123, v18, 0xbacd, -v123
	v_add_f16_e32 v102, v164, v102
	v_fmac_f16_e32 v166, 0x3a62, v22
	v_add_f16_e32 v133, v160, v133
	v_fmamk_f16 v160, v37, 0xb461, v126
	v_add_f16_e32 v123, v123, v4
	v_fma_f16 v161, v46, 0x3722, -v165
	v_add_f16_e32 v164, v166, v102
	v_fmac_f16_e32 v145, 0xba62, v14
	v_add_f16_e32 v102, v160, v133
	v_fma_f16 v133, v21, 0x2de8, -v172
	v_add_f16_e32 v123, v161, v123
	v_fma_f16 v125, v23, 0xb8d2, -v125
	v_add_f16_sdwa v145, v145, v4 dst_sel:DWORD dst_unused:UNUSED_PAD src0_sel:DWORD src1_sel:WORD_1
	v_fmac_f16_e32 v147, 0x3bb2, v20
	v_fma_f16 v116, v34, 0x39e9, -v116
	v_add_f16_e32 v123, v133, v123
	v_fma_f16 v141, v46, 0xb461, -v141
	v_fmac_f16_e32 v128, 0xbbb2, v14
	v_add_f16_e32 v145, v147, v145
	v_fma_f16 v147, v18, 0xb8d2, -v153
	v_add_f16_e32 v123, v125, v123
	v_fma_f16 v125, v25, 0x3b76, -v169
	v_add_f16_sdwa v128, v128, v4 dst_sel:DWORD dst_unused:UNUSED_PAD src0_sel:DWORD src1_sel:WORD_1
	v_fmac_f16_e32 v129, 0x3836, v20
	v_fma_f16 v131, v18, 0xb461, -v131
	v_alignbit_b32 v38, v38, v38, 16
	v_add_f16_e32 v123, v125, v123
	v_fma_f16 v125, v33, 0xbbdd, -v171
	v_add_f16_e32 v128, v129, v128
	v_fma_f16 v129, v46, 0xbacd, -v130
	v_mul_f16_e32 v130, 0xbbdd, v17
	v_fmac_f16_e32 v151, 0xb5c8, v19
	v_add_f16_e32 v123, v125, v123
	v_add_f16_e32 v125, v147, v4
	v_fmac_f16_e32 v132, 0x3964, v19
	v_add_f16_e32 v112, v112, v130
	v_add_f16_e32 v145, v151, v145
	;; [unrolled: 1-line block ×3, first 2 shown]
	v_fma_f16 v123, v37, 0xb461, -v126
	v_add_f16_e32 v125, v141, v125
	v_fma_f16 v126, v21, 0x3b76, -v156
	v_fmac_f16_e32 v152, 0xb836, v22
	v_add_f16_e32 v128, v132, v128
	v_add_f16_e32 v116, v123, v116
	v_fmac_f16_e32 v137, 0xbb29, v22
	v_add_f16_e32 v123, v126, v125
	v_fma_f16 v125, v23, 0xbacd, -v158
	v_add_f16_e32 v145, v152, v145
	v_fmac_f16_e32 v154, 0x3bf7, v24
	v_add_f16_e32 v128, v137, v128
	v_fmac_f16_e32 v138, 0xb1e1, v24
	v_add_f16_e32 v123, v125, v123
	v_fma_f16 v125, v25, 0x2de8, -v136
	v_fmac_f16_e32 v167, 0xb5c8, v24
	v_add_f16_e32 v145, v154, v145
	v_fmac_f16_e32 v150, 0xb964, v26
	v_add_f16_e32 v128, v138, v128
	v_add_f16_e32 v123, v125, v123
	v_fma_f16 v125, v33, 0x39e9, -v127
	v_add_f16_e32 v127, v131, v4
	v_fmac_f16_e32 v142, 0x3bf7, v26
	v_add_f16_e32 v160, v167, v164
	v_fmac_f16_e32 v170, 0xb1e1, v26
	v_add_f16_e32 v123, v125, v123
	v_fma_f16 v125, v34, 0xbbdd, -v162
	v_add_f16_e32 v127, v129, v127
	v_fma_f16 v129, v21, 0x39e9, -v134
	v_add_f16_e32 v141, v150, v145
	v_fmac_f16_e32 v157, 0xb1e1, v27
	v_add_f16_e32 v123, v125, v123
	v_fma_f16 v125, v37, 0x3722, -v155
	v_add_f16_e32 v127, v129, v127
	v_fma_f16 v129, v23, 0x3722, -v135
	v_add_f16_e32 v128, v142, v128
	v_fmac_f16_e32 v144, 0xb5c8, v27
	v_add_f16_e32 v123, v125, v123
	v_mul_f16_e32 v125, 0x2de8, v82
	v_add_f16_e32 v127, v129, v127
	v_fma_f16 v129, v25, 0xbbdd, -v139
	v_add_f16_e32 v133, v170, v160
	v_fmac_f16_e32 v163, 0x3964, v27
	v_add_f16_e32 v111, v111, v125
	v_add_f16_e32 v126, v157, v141
	;; [unrolled: 1-line block ×3, first 2 shown]
	v_fma_f16 v127, v33, 0x2de8, -v143
	v_mul_f16_e32 v129, 0xb461, v89
	v_add_f16_sdwa v111, v111, v4 dst_sel:DWORD dst_unused:UNUSED_PAD src0_sel:DWORD src1_sel:WORD_1
	v_fmac_f16_e32 v159, 0x3b29, v36
	v_add_f16_e32 v128, v144, v128
	v_add_f16_e32 v125, v127, v125
	;; [unrolled: 1-line block ×4, first 2 shown]
	v_mul_f16_e32 v127, 0x3b76, v98
	v_mul_f16_e32 v129, 0x2de8, v18
	v_fma_f16 v112, v34, 0x3b76, -v148
	v_fmac_f16_e32 v146, 0xba62, v36
	v_add_f16_e32 v111, v114, v111
	v_add_f16_e32 v114, v117, v127
	v_mul_f16_e32 v117, 0xbbdd, v46
	v_sub_f16_e32 v52, v129, v52
	v_mul_f16_e32 v127, 0x3722, v105
	v_add_f16_e32 v112, v112, v125
	v_add_f16_e32 v111, v114, v111
	v_sub_f16_e32 v55, v117, v55
	v_add_f16_e32 v52, v52, v4
	v_mul_f16_e32 v114, 0xb461, v21
	v_add_f16_e32 v115, v115, v127
	v_mul_f16_e32 v117, 0xbacd, v107
	v_fma_f16 v125, v37, 0xb8d2, -v140
	v_add_f16_e32 v52, v55, v52
	v_sub_f16_e32 v55, v114, v56
	v_add_f16_e32 v56, v115, v111
	v_add_f16_e32 v114, v118, v117
	v_mul_f16_e32 v111, 0x3b76, v23
	v_mul_f16_e32 v117, 0x39e9, v82
	v_add_f16_e32 v52, v55, v52
	v_mul_f16_e32 v55, 0xb8d2, v110
	v_add_f16_e32 v56, v114, v56
	v_mul_f16_e32 v114, 0x3722, v25
	v_sub_f16_e32 v59, v111, v59
	v_mul_f16_e32 v82, 0x3722, v82
	v_add_f16_e32 v55, v121, v55
	v_alignbit_b32 v115, v4, v4, 16
	v_sub_f16_e32 v61, v114, v61
	v_mul_f16_e32 v114, 0x39e9, v120
	v_add_f16_e32 v52, v59, v52
	v_add_f16_e32 v55, v55, v56
	v_mul_f16_e32 v56, 0xbacd, v33
	v_add_f16_e32 v81, v81, v82
	v_add_f16_e32 v114, v124, v114
	;; [unrolled: 1-line block ×3, first 2 shown]
	v_mul_f16_e32 v59, 0x3722, v18
	v_sub_f16_e32 v56, v56, v63
	v_mul_f16_e32 v63, 0xb8d2, v17
	v_add_f16_e32 v55, v114, v55
	v_mul_f16_e32 v114, 0xb8d2, v89
	v_add_f16_sdwa v81, v81, v4 dst_sel:DWORD dst_unused:UNUSED_PAD src0_sel:DWORD src1_sel:WORD_1
	v_mul_f16_e32 v89, 0xbbdd, v89
	v_add_f16_e32 v63, v83, v63
	v_add_f16_e32 v52, v56, v52
	v_mul_f16_e32 v56, 0xb8d2, v34
	v_mul_f16_e32 v118, 0x39e9, v46
	v_add_f16_e32 v88, v88, v89
	v_add_f16_e32 v63, v63, v81
	v_mul_f16_e32 v81, 0xbbdd, v98
	v_mul_f16_e32 v98, 0xb461, v98
	;; [unrolled: 1-line block ×3, first 2 shown]
	v_sub_f16_e32 v56, v56, v66
	v_add_f16_e32 v63, v88, v63
	v_sub_f16_e32 v39, v59, v39
	v_add_f16_e32 v98, v100, v98
	v_mul_f16_e32 v100, 0xbacd, v105
	v_mul_f16_e32 v105, 0x39e9, v105
	v_pk_add_f16 v5, v5, v115 op_sel:[0,1] op_sel_hi:[1,0]
	v_mul_f16_e32 v83, 0xbbdd, v21
	v_add_f16_e32 v52, v56, v52
	v_mul_f16_e32 v56, 0x39e9, v37
	v_add_f16_e32 v63, v98, v63
	v_add_f16_e32 v104, v104, v105
	v_mul_f16_e32 v105, 0xb461, v107
	v_mul_f16_e32 v107, 0x3b76, v107
	v_add_f16_e32 v39, v39, v4
	v_sub_f16_e32 v41, v46, v41
	v_pk_add_f16 v5, v38, v5
	v_mul_f16_e32 v61, 0x2de8, v17
	v_mul_f16_e32 v89, 0xb461, v23
	v_sub_f16_e32 v56, v56, v74
	v_add_f16_e32 v63, v104, v63
	v_add_f16_e32 v106, v106, v107
	;; [unrolled: 1-line block ×3, first 2 shown]
	v_sub_f16_e32 v43, v83, v43
	v_add_f16_e32 v68, v68, v117
	v_pk_add_f16 v5, v15, v5
	v_mul_f16_e32 v74, 0x39e9, v25
	v_mul_f16_e32 v46, 0x3722, v110
	;; [unrolled: 1-line block ×3, first 2 shown]
	v_add_f16_e32 v52, v56, v52
	v_add_f16_e32 v56, v106, v63
	v_add_f16_sdwa v63, v68, v4 dst_sel:DWORD dst_unused:UNUSED_PAD src0_sel:DWORD src1_sel:WORD_1
	v_add_f16_e32 v61, v69, v61
	v_add_f16_e32 v39, v43, v39
	v_sub_f16_e32 v40, v89, v40
	v_pk_add_f16 v5, v10, v5
	v_mul_f16_e32 v59, 0x3b76, v33
	v_add_f16_e32 v43, v95, v110
	v_add_f16_e32 v61, v61, v63
	v_add_f16_e32 v63, v65, v114
	v_add_f16_e32 v38, v40, v39
	v_sub_f16_e32 v39, v74, v44
	v_pk_add_f16 v5, v11, v5
	v_mul_f16_e32 v111, 0x3b76, v18
	v_add_f16_e32 v40, v43, v56
	v_add_f16_e32 v43, v63, v61
	;; [unrolled: 7-line block ×3, first 2 shown]
	v_add_f16_e32 v38, v39, v38
	v_sub_f16_e32 v39, v111, v57
	v_pk_add_f16 v5, v13, v5
	v_sub_f16_e32 v12, v118, v58
	v_add_f16_e32 v10, v15, v10
	v_add_f16_e32 v15, v73, v105
	v_add_f16_e32 v4, v39, v4
	v_pk_add_f16 v5, v8, v5
	v_mul_f16_e32 v66, 0x2de8, v23
	v_mul_f16_e32 v107, 0x2de8, v34
	;; [unrolled: 1-line block ×3, first 2 shown]
	v_add_f16_e32 v10, v15, v10
	v_add_f16_e32 v15, v79, v46
	;; [unrolled: 1-line block ×3, first 2 shown]
	v_sub_f16_e32 v12, v82, v60
	v_pk_add_f16 v5, v9, v5
	v_mul_f16_e32 v88, 0xb461, v25
	v_mul_f16_e32 v117, 0xbacd, v37
	v_sub_f16_e32 v11, v107, v53
	v_add_f16_e32 v10, v15, v10
	v_add_f16_e32 v8, v108, v83
	;; [unrolled: 1-line block ×3, first 2 shown]
	v_sub_f16_e32 v12, v66, v62
	v_pk_add_f16 v5, v6, v5
	v_mul_f16_e32 v98, 0xb8d2, v33
	v_add_f16_e32 v11, v11, v38
	v_sub_f16_e32 v13, v117, v54
	v_add_f16_e32 v8, v8, v10
	v_add_f16_e32 v4, v12, v4
	v_sub_f16_e32 v10, v88, v64
	v_bfi_b32 v6, 0xffff, v75, v85
	v_pk_add_f16 v5, v7, v5
	v_mul_f16_e32 v104, 0xbacd, v34
	v_add_f16_e32 v9, v13, v11
	v_bfi_b32 v11, 0xffff, v76, v90
	v_add_f16_e32 v4, v10, v4
	v_sub_f16_e32 v7, v98, v67
	v_pk_add_f16 v2, v2, v5
	v_pk_add_f16 v5, v6, v115
	v_mul_f16_e32 v41, 0xbbdd, v37
	v_bfi_b32 v12, 0xffff, v77, v92
	v_add_f16_e32 v4, v7, v4
	v_sub_f16_e32 v6, v104, v71
	v_pk_add_f16 v2, v3, v2
	v_pk_add_f16 v5, v11, v5
	v_bfi_b32 v10, 0xffff, v78, v94
	v_pk_mul_f16 v11, 0xbbdd, v18 op_sel_hi:[0,1]
	v_add_f16_e32 v4, v6, v4
	v_sub_f16_e32 v6, v41, v80
	v_pk_add_f16 v0, v0, v2
	v_mov_b32_e32 v2, 2
	v_pk_add_f16 v5, v12, v5
	v_bfi_b32 v13, 0xffff, v84, v96
	v_add_f16_e32 v4, v6, v4
	v_pk_add_f16 v0, v1, v0
	v_lshlrev_b32_sdwa v1, v2, v51 dst_sel:DWORD dst_unused:UNUSED_PAD src0_sel:DWORD src1_sel:WORD_0
	v_pk_add_f16 v2, v10, v5
	v_pk_fma_f16 v5, 0xb1e1, v14, v11 op_sel:[0,0,1] op_sel_hi:[0,1,0] neg_lo:[0,1,0] neg_hi:[0,1,0]
	v_pk_mul_f16 v6, 0x35c8, v20 op_sel_hi:[0,1]
	v_pk_fma_f16 v10, 0xb1e1, v14, v11 op_sel:[0,0,1] op_sel_hi:[0,1,0]
	v_bfi_b32 v38, 0xffff, v87, v101
	v_pk_add_f16 v2, v13, v2
	v_pk_add_f16 v5, v5, v115
	v_pk_fma_f16 v11, 0x3b76, v17, v6 op_sel_hi:[0,1,1] neg_lo:[0,0,1] neg_hi:[0,0,1]
	v_pk_mul_f16 v12, 0xbacd, v21 op_sel_hi:[0,1]
	v_pk_add_f16 v10, v10, v115
	v_pk_fma_f16 v6, 0x3b76, v17, v6 op_sel_hi:[0,1,1]
	v_bfi_b32 v7, 0xffff, v86, v97
	v_pk_add_f16 v2, v38, v2
	v_pk_add_f16 v5, v11, v5
	v_pk_fma_f16 v11, 0xb836, v19, v12 op_sel:[0,0,1] op_sel_hi:[0,1,0] neg_lo:[0,1,0] neg_hi:[0,1,0]
	v_pk_mul_f16 v13, 0x39e9, v23 op_sel_hi:[0,1]
	v_pk_add_f16 v6, v6, v10
	v_pk_fma_f16 v10, 0xb836, v19, v12 op_sel:[0,0,1] op_sel_hi:[0,1,0]
	v_bfi_b32 v3, 0xffff, v91, v99
	v_pk_add_f16 v2, v7, v2
	v_pk_add_f16 v5, v11, v5
	v_pk_fma_f16 v7, 0x3964, v22, v13 op_sel:[0,0,1] op_sel_hi:[0,1,0] neg_lo:[0,1,0] neg_hi:[0,1,0]
	v_pk_mul_f16 v11, 0xb8d2, v25 op_sel_hi:[0,1]
	v_pk_add_f16 v6, v10, v6
	v_pk_fma_f16 v10, 0x3964, v22, v13 op_sel:[0,0,1] op_sel_hi:[0,1,0]
	v_pk_add_f16 v2, v3, v2
	v_pk_add_f16 v3, v7, v5
	v_pk_fma_f16 v5, 0xba62, v24, v11 op_sel:[0,0,1] op_sel_hi:[0,1,0] neg_lo:[0,1,0] neg_hi:[0,1,0]
	v_pk_mul_f16 v7, 0x3722, v33 op_sel_hi:[0,1]
	v_pk_add_f16 v6, v10, v6
	v_pk_fma_f16 v10, 0xba62, v24, v11 op_sel:[0,0,1] op_sel_hi:[0,1,0]
	v_pk_mul_f16 v11, 0xb461, v34 op_sel_hi:[0,1]
	v_pk_add_f16 v3, v5, v3
	v_pk_fma_f16 v5, 0x3b29, v26, v7 op_sel:[0,0,1] op_sel_hi:[0,1,0] neg_lo:[0,1,0] neg_hi:[0,1,0]
	v_pk_fma_f16 v7, 0x3b29, v26, v7 op_sel:[0,0,1] op_sel_hi:[0,1,0]
	v_pk_add_f16 v6, v10, v6
	v_mul_f16_e32 v120, 0xbacd, v120
	v_alignbit_b32 v8, v8, v2, 16
	v_pack_b32_f16 v2, v4, v2
	v_pk_add_f16 v3, v5, v3
	v_pk_fma_f16 v4, 0xbbb2, v27, v11 op_sel:[0,0,1] op_sel_hi:[0,1,0] neg_lo:[0,1,0] neg_hi:[0,1,0]
	v_pk_mul_f16 v5, 0x2de8, v37 op_sel_hi:[0,1]
	v_pk_add_f16 v6, v7, v6
	v_pk_fma_f16 v7, 0xbbb2, v27, v11 op_sel:[0,0,1] op_sel_hi:[0,1,0]
	v_add_f16_e32 v44, v109, v120
	v_add_f16_e32 v133, v163, v133
	v_fmac_f16_e32 v149, 0xbbb2, v36
	v_pk_add_f16 v3, v4, v3
	v_pk_fma_f16 v4, 0x3bf7, v36, v5 op_sel:[0,0,1] op_sel_hi:[0,1,0] neg_lo:[0,1,0] neg_hi:[0,1,0]
	v_pk_add_f16 v6, v7, v6
	v_pk_fma_f16 v5, 0x3bf7, v36, v5 op_sel:[0,0,1] op_sel_hi:[0,1,0]
	v_add_f16_e32 v15, v44, v40
	v_add_f16_e32 v126, v159, v126
	;; [unrolled: 1-line block ×5, first 2 shown]
	v_pk_add_f16 v3, v4, v3
	v_pk_add_f16 v4, v5, v6
	v_pack_b32_f16 v10, v52, v55
	v_pack_b32_f16 v9, v9, v15
	;; [unrolled: 1-line block ×4, first 2 shown]
	v_pk_add_f16 v0, v16, v0
	v_pack_b32_f16 v12, v116, v133
	ds_write2_b32 v1, v2, v8 offset0:1 offset1:2
	ds_write2_b32 v1, v9, v10 offset0:3 offset1:4
	;; [unrolled: 1-line block ×3, first 2 shown]
	ds_write2_b32 v1, v0, v12 offset1:7
	v_alignbit_b32 v0, v3, v4, 16
	v_alignbit_b32 v2, v4, v3, 16
	v_pack_b32_f16 v3, v103, v122
	v_pack_b32_f16 v4, v102, v93
	;; [unrolled: 1-line block ×3, first 2 shown]
	v_perm_b32 v6, v48, v29, 0x5040100
	v_perm_b32 v7, v35, v31, 0x5040100
	v_perm_b32 v8, v47, v30, 0x5040100
	v_perm_b32 v9, v42, v32, 0x5040100
	ds_write2_b32 v1, v2, v0 offset0:8 offset1:9
	ds_write2_b32 v1, v4, v3 offset0:10 offset1:11
	;; [unrolled: 1-line block ×4, first 2 shown]
	ds_write_b32 v1, v9 offset:64
.LBB0_7:
	s_or_b32 exec_lo, exec_lo, s4
	v_and_b32_e32 v0, 0xff, v50
	s_load_dwordx4 s[4:7], s[0:1], 0x0
	s_waitcnt lgkmcnt(0)
	s_barrier
	buffer_gl0_inv
	v_mul_lo_u16 v0, 0xf1, v0
	v_add_nc_u32_e32 v2, 0x400, v49
	v_add_nc_u32_e32 v5, 0x800, v49
	;; [unrolled: 1-line block ×4, first 2 shown]
	v_lshrrev_b16 v4, 12, v0
	v_cmp_gt_u16_e64 s0, 0x44, v50
	v_mul_lo_u16 v0, v4, 17
	v_sub_nc_u16 v0, v50, v0
	v_and_b32_e32 v3, 0xff, v0
	v_mul_u32_u24_e32 v0, 12, v3
	v_lshlrev_b32_e32 v0, 2, v0
	s_clause 0x2
	global_load_dwordx4 v[16:19], v0, s[2:3]
	global_load_dwordx4 v[12:15], v0, s[2:3] offset:16
	global_load_dwordx4 v[8:11], v0, s[2:3] offset:32
	ds_read2_b32 v[0:1], v49 offset1:153
	ds_read_b32 v52, v49 offset:7344
	ds_read2_b32 v[25:26], v2 offset0:50 offset1:203
	v_add_nc_u32_e32 v2, 0x1700, v49
	ds_read2_b32 v[33:34], v5 offset0:100 offset1:253
	ds_read2_b32 v[40:41], v6 offset0:22 offset1:175
	ds_read2_b32 v[43:44], v7 offset0:72 offset1:225
	ds_read2_b32 v[45:46], v2 offset0:58 offset1:211
	s_waitcnt vmcnt(0) lgkmcnt(0)
	s_barrier
	buffer_gl0_inv
	v_lshrrev_b32_e32 v53, 16, v52
	v_lshrrev_b32_e32 v23, 16, v1
	v_lshrrev_b32_e32 v27, 16, v25
	v_lshrrev_b32_e32 v56, 16, v40
	v_lshrrev_b32_e32 v38, 16, v26
	v_lshrrev_b32_e32 v54, 16, v33
	v_lshrrev_b32_e32 v59, 16, v44
	v_lshrrev_b32_e32 v55, 16, v34
	v_lshrrev_b32_e32 v57, 16, v41
	v_lshrrev_b32_e32 v58, 16, v43
	v_lshrrev_b32_e32 v61, 16, v46
	v_lshrrev_b32_e32 v60, 16, v45
	v_mul_f16_sdwa v39, v23, v16 dst_sel:DWORD dst_unused:UNUSED_PAD src0_sel:DWORD src1_sel:WORD_1
	v_mul_f16_sdwa v63, v27, v17 dst_sel:DWORD dst_unused:UNUSED_PAD src0_sel:DWORD src1_sel:WORD_1
	v_mul_f16_sdwa v69, v56, v13 dst_sel:DWORD dst_unused:UNUSED_PAD src0_sel:DWORD src1_sel:WORD_1
	v_mul_f16_sdwa v62, v1, v16 dst_sel:DWORD dst_unused:UNUSED_PAD src0_sel:DWORD src1_sel:WORD_1
	v_mul_f16_sdwa v65, v38, v18 dst_sel:DWORD dst_unused:UNUSED_PAD src0_sel:DWORD src1_sel:WORD_1
	v_fma_f16 v76, v1, v16, -v39
	v_mul_f16_sdwa v5, v40, v13 dst_sel:DWORD dst_unused:UNUSED_PAD src0_sel:DWORD src1_sel:WORD_1
	v_fma_f16 v63, v25, v17, -v63
	v_fma_f16 v1, v40, v13, -v69
	v_mul_f16_sdwa v67, v54, v19 dst_sel:DWORD dst_unused:UNUSED_PAD src0_sel:DWORD src1_sel:WORD_1
	v_add_f16_e32 v40, v0, v76
	v_mul_f16_sdwa v72, v59, v8 dst_sel:DWORD dst_unused:UNUSED_PAD src0_sel:DWORD src1_sel:WORD_1
	v_mul_f16_sdwa v22, v52, v11 dst_sel:DWORD dst_unused:UNUSED_PAD src0_sel:DWORD src1_sel:WORD_1
	v_fma_f16 v65, v26, v18, -v65
	v_mul_f16_sdwa v66, v26, v18 dst_sel:DWORD dst_unused:UNUSED_PAD src0_sel:DWORD src1_sel:WORD_1
	v_add_f16_e32 v40, v40, v63
	v_mul_f16_sdwa v37, v33, v19 dst_sel:DWORD dst_unused:UNUSED_PAD src0_sel:DWORD src1_sel:WORD_1
	v_mul_f16_sdwa v68, v55, v12 dst_sel:DWORD dst_unused:UNUSED_PAD src0_sel:DWORD src1_sel:WORD_1
	v_mul_f16_sdwa v70, v57, v14 dst_sel:DWORD dst_unused:UNUSED_PAD src0_sel:DWORD src1_sel:WORD_1
	v_mul_f16_sdwa v71, v58, v15 dst_sel:DWORD dst_unused:UNUSED_PAD src0_sel:DWORD src1_sel:WORD_1
	v_mul_f16_sdwa v20, v45, v9 dst_sel:DWORD dst_unused:UNUSED_PAD src0_sel:DWORD src1_sel:WORD_1
	v_mul_f16_sdwa v74, v61, v10 dst_sel:DWORD dst_unused:UNUSED_PAD src0_sel:DWORD src1_sel:WORD_1
	v_mul_f16_sdwa v75, v53, v11 dst_sel:DWORD dst_unused:UNUSED_PAD src0_sel:DWORD src1_sel:WORD_1
	v_fmac_f16_e32 v62, v23, v16
	v_fma_f16 v39, v33, v19, -v67
	v_fma_f16 v33, v44, v8, -v72
	v_fmac_f16_e32 v22, v53, v11
	v_add_f16_e32 v40, v40, v65
	v_mul_f16_sdwa v64, v25, v17 dst_sel:DWORD dst_unused:UNUSED_PAD src0_sel:DWORD src1_sel:WORD_1
	v_mul_f16_sdwa v36, v34, v12 dst_sel:DWORD dst_unused:UNUSED_PAD src0_sel:DWORD src1_sel:WORD_1
	;; [unrolled: 1-line block ×6, first 2 shown]
	v_fmac_f16_e32 v66, v38, v18
	v_fma_f16 v38, v34, v12, -v68
	v_fma_f16 v23, v41, v14, -v70
	;; [unrolled: 1-line block ×3, first 2 shown]
	v_fmac_f16_e32 v20, v60, v9
	v_fma_f16 v26, v46, v10, -v74
	v_fma_f16 v25, v52, v11, -v75
	v_add_f16_sdwa v41, v0, v62 dst_sel:DWORD dst_unused:UNUSED_PAD src0_sel:WORD_1 src1_sel:DWORD
	v_add_f16_e32 v44, v62, v22
	v_sub_f16_e32 v46, v62, v22
	v_add_f16_e32 v60, v39, v33
	v_sub_f16_e32 v62, v39, v33
	v_add_f16_e32 v39, v40, v39
	v_fmac_f16_e32 v64, v27, v17
	v_fma_f16 v27, v45, v9, -v73
	v_fmac_f16_e32 v21, v61, v10
	v_sub_f16_e32 v45, v76, v25
	v_add_f16_e32 v68, v38, v34
	v_sub_f16_e32 v70, v38, v34
	v_add_f16_e32 v38, v39, v38
	v_mul_f16_sdwa v24, v43, v15 dst_sel:DWORD dst_unused:UNUSED_PAD src0_sel:DWORD src1_sel:WORD_1
	v_fmac_f16_e32 v37, v54, v19
	v_fmac_f16_e32 v36, v55, v12
	v_add_f16_e32 v43, v76, v25
	v_add_f16_e32 v52, v63, v26
	;; [unrolled: 1-line block ×3, first 2 shown]
	v_sub_f16_e32 v54, v63, v26
	v_sub_f16_e32 v55, v64, v21
	v_add_f16_e32 v41, v41, v64
	v_mul_f16_e32 v63, 0xb770, v46
	v_mul_f16_e32 v64, 0xb770, v45
	v_add_f16_e32 v38, v38, v1
	v_fmac_f16_e32 v5, v56, v13
	v_fmac_f16_e32 v6, v57, v14
	v_fmac_f16_e32 v24, v58, v15
	v_fmac_f16_e32 v7, v59, v8
	v_add_f16_e32 v56, v65, v27
	v_add_f16_e32 v57, v66, v20
	v_sub_f16_e32 v58, v65, v27
	v_sub_f16_e32 v59, v66, v20
	v_mul_f16_e32 v73, 0xba95, v46
	v_mul_f16_e32 v74, 0xba95, v45
	;; [unrolled: 1-line block ×12, first 2 shown]
	v_add_f16_e32 v41, v41, v66
	v_fma_f16 v65, v43, 0x3b15, -v63
	v_fmamk_f16 v66, v44, 0x3b15, v64
	v_add_f16_e32 v38, v38, v23
	v_add_f16_e32 v61, v37, v7
	v_sub_f16_e32 v67, v37, v7
	v_mul_f16_e32 v83, 0xbb7b, v55
	v_mul_f16_e32 v84, 0xbb7b, v54
	;; [unrolled: 1-line block ×12, first 2 shown]
	v_fmac_f16_e32 v63, 0x3b15, v43
	v_fma_f16 v64, v44, 0x3b15, -v64
	v_fma_f16 v121, v43, 0x388b, -v73
	v_fmamk_f16 v122, v44, 0x388b, v74
	v_fmac_f16_e32 v73, 0x388b, v43
	v_fma_f16 v74, v44, 0x388b, -v74
	v_fma_f16 v123, v43, 0x2fb7, -v75
	v_fmamk_f16 v124, v44, 0x2fb7, v76
	;; [unrolled: 4-line block ×6, first 2 shown]
	v_add_f16_e32 v37, v41, v37
	v_add_f16_e32 v40, v0, v65
	v_add_f16_sdwa v41, v0, v66 dst_sel:DWORD dst_unused:UNUSED_PAD src0_sel:WORD_1 src1_sel:DWORD
	v_add_f16_e32 v34, v38, v34
	v_add_f16_e32 v69, v36, v24
	v_sub_f16_e32 v71, v36, v24
	v_mul_f16_e32 v93, 0xb3a8, v59
	v_mul_f16_e32 v94, 0xb3a8, v58
	;; [unrolled: 1-line block ×12, first 2 shown]
	v_fmac_f16_e32 v81, 0x388b, v52
	v_fma_f16 v82, v53, 0x388b, -v82
	v_fma_f16 v131, v52, 0xb5ac, -v83
	v_fmamk_f16 v132, v53, 0xb5ac, v84
	v_fmac_f16_e32 v83, 0xb5ac, v52
	v_fma_f16 v84, v53, 0xb5ac, -v84
	v_fma_f16 v133, v52, 0xbbc4, -v85
	v_fmamk_f16 v134, v53, 0xbbc4, v86
	;; [unrolled: 4-line block ×6, first 2 shown]
	v_add_f16_e32 v63, v0, v63
	v_add_f16_sdwa v64, v0, v64 dst_sel:DWORD dst_unused:UNUSED_PAD src0_sel:WORD_1 src1_sel:DWORD
	v_add_f16_e32 v65, v0, v121
	v_add_f16_sdwa v66, v0, v122 dst_sel:DWORD dst_unused:UNUSED_PAD src0_sel:WORD_1 src1_sel:DWORD
	;; [unrolled: 2-line block ×4, first 2 shown]
	v_add_f16_e32 v36, v37, v36
	v_add_f16_e32 v37, v44, v40
	;; [unrolled: 1-line block ×4, first 2 shown]
	v_mul_f16_e32 v103, 0x394e, v67
	v_mul_f16_e32 v104, 0x394e, v62
	;; [unrolled: 1-line block ×12, first 2 shown]
	v_fmac_f16_e32 v91, 0x2fb7, v56
	v_fma_f16 v92, v57, 0x2fb7, -v92
	v_fma_f16 v141, v56, 0xbbc4, -v93
	v_fmamk_f16 v142, v57, 0xbbc4, v94
	v_fmac_f16_e32 v93, 0xbbc4, v56
	v_fma_f16 v94, v57, 0xbbc4, -v94
	v_fma_f16 v143, v56, 0xb5ac, -v95
	v_fmamk_f16 v144, v57, 0xb5ac, v96
	;; [unrolled: 4-line block ×6, first 2 shown]
	v_add_f16_e32 v75, v0, v75
	v_add_f16_sdwa v76, v0, v76 dst_sel:DWORD dst_unused:UNUSED_PAD src0_sel:WORD_1 src1_sel:DWORD
	v_add_f16_e32 v123, v0, v125
	v_add_f16_sdwa v124, v0, v126 dst_sel:DWORD dst_unused:UNUSED_PAD src0_sel:WORD_1 src1_sel:DWORD
	;; [unrolled: 2-line block ×7, first 2 shown]
	v_add_f16_e32 v40, v81, v63
	v_add_f16_e32 v41, v82, v64
	;; [unrolled: 1-line block ×12, first 2 shown]
	v_sub_f16_e32 v72, v5, v6
	v_mul_f16_e32 v113, 0x3bf1, v71
	v_mul_f16_e32 v114, 0x3bf1, v70
	;; [unrolled: 1-line block ×4, first 2 shown]
	v_fmac_f16_e32 v101, 0xb5ac, v60
	v_fma_f16 v102, v61, 0xb5ac, -v102
	v_fma_f16 v151, v60, 0xb9fd, -v103
	v_fmamk_f16 v152, v61, 0xb9fd, v104
	v_fmac_f16_e32 v103, 0xb9fd, v60
	v_fma_f16 v104, v61, 0xb9fd, -v104
	v_fma_f16 v153, v60, 0x3b15, -v105
	v_fmamk_f16 v154, v61, 0x3b15, v106
	;; [unrolled: 4-line block ×6, first 2 shown]
	v_add_f16_e32 v0, v52, v0
	v_add_f16_e32 v40, v91, v40
	;; [unrolled: 1-line block ×13, first 2 shown]
	v_mul_f16_e32 v118, 0x33a8, v70
	v_mul_f16_e32 v120, 0x3770, v70
	;; [unrolled: 1-line block ×3, first 2 shown]
	v_fmac_f16_e32 v111, 0xb9fd, v68
	v_fma_f16 v112, v69, 0xb9fd, -v112
	v_fma_f16 v161, v68, 0x2fb7, -v113
	v_fmamk_f16 v162, v69, 0x2fb7, v114
	v_fmac_f16_e32 v113, 0x2fb7, v68
	v_fma_f16 v114, v69, 0x2fb7, -v114
	v_fma_f16 v163, v68, 0x388b, -v115
	v_fmamk_f16 v164, v69, 0x388b, v116
	v_add_f16_e32 v0, v56, v0
	v_add_f16_e32 v40, v101, v40
	;; [unrolled: 1-line block ×14, first 2 shown]
	v_mul_f16_e32 v39, 0xb3a8, v72
	v_sub_f16_e32 v1, v1, v23
	v_add_f16_e32 v0, v60, v0
	v_add_f16_e32 v38, v111, v40
	;; [unrolled: 1-line block ×9, first 2 shown]
	v_fma_f16 v23, v69, 0xb5ac, -v70
	v_fma_f16 v54, v26, 0xbbc4, -v39
	v_add_f16_e32 v5, v5, v6
	v_mul_f16_e32 v6, 0xb3a8, v1
	v_add_f16_e32 v73, v86, v76
	v_add_f16_e32 v74, v135, v123
	;; [unrolled: 1-line block ×4, first 2 shown]
	v_mul_f16_e32 v36, 0x3770, v72
	v_fmamk_f16 v54, v5, 0xbbc4, v6
	v_fma_f16 v6, v5, 0xbbc4, -v6
	v_mul_f16_e32 v60, 0x3770, v1
	v_mul_f16_e32 v117, 0x33a8, v71
	v_add_f16_e32 v66, v85, v75
	v_add_f16_e32 v76, v87, v77
	v_add_f16_e32 v63, v96, v73
	v_add_f16_e32 v64, v145, v74
	v_fmac_f16_e32 v39, 0xbbc4, v26
	v_fma_f16 v61, v26, 0x3b15, -v36
	v_add_f16_e32 v62, v54, v37
	v_add_f16_e32 v54, v6, v40
	v_fmamk_f16 v6, v5, 0x3b15, v60
	v_fmac_f16_e32 v36, 0x3b15, v26
	v_fma_f16 v116, v69, 0x388b, -v116
	v_fma_f16 v165, v68, 0xbbc4, -v117
	v_add_f16_e32 v75, v136, v124
	v_add_f16_e32 v77, v88, v78
	v_add_f16_e32 v81, v138, v126
	v_add_f16_e32 v79, v89, v79
	v_add_f16_e32 v80, v90, v80
	v_add_f16_e32 v46, v55, v46
	v_add_f16_e32 v55, v95, v66
	v_add_f16_e32 v66, v97, v76
	v_add_f16_e32 v56, v106, v63
	v_add_f16_e32 v57, v155, v64
	v_add_f16_e32 v39, v39, v38
	v_add_f16_e32 v40, v61, v41
	v_mul_f16_e32 v37, 0xb94e, v72
	v_fma_f16 v41, v5, 0x3b15, -v60
	v_add_f16_e32 v6, v6, v43
	v_mul_f16_e32 v43, 0xb94e, v1
	v_add_f16_e32 v38, v36, v44
	v_mul_f16_e32 v36, 0x3a95, v72
	v_mul_f16_e32 v119, 0x3770, v71
	v_fmac_f16_e32 v117, 0xbbc4, v68
	v_add_f16_e32 v78, v137, v125
	v_add_f16_e32 v65, v146, v75
	;; [unrolled: 1-line block ×11, first 2 shown]
	v_fma_f16 v61, v26, 0xb9fd, -v37
	v_add_f16_e32 v60, v41, v45
	v_fmamk_f16 v41, v5, 0xb9fd, v43
	v_fma_f16 v43, v5, 0xb9fd, -v43
	v_fma_f16 v45, v26, 0x388b, -v36
	v_fmamk_f16 v166, v69, 0xbbc4, v118
	v_fma_f16 v167, v68, 0x3b15, -v119
	v_fmamk_f16 v168, v69, 0x3b15, v120
	v_fmac_f16_e32 v119, 0x3b15, v68
	v_fma_f16 v120, v69, 0x3b15, -v120
	v_add_f16_e32 v82, v139, v127
	v_add_f16_e32 v74, v147, v78
	;; [unrolled: 1-line block ×12, first 2 shown]
	v_mul_f16_e32 v34, 0xbb7b, v72
	v_fmac_f16_e32 v36, 0x388b, v26
	v_mul_f16_e32 v45, 0xbb7b, v1
	v_add_f16_e32 v83, v140, v128
	v_mul_f16_e32 v71, 0xbb7b, v71
	v_fmac_f16_e32 v115, 0x388b, v68
	v_fma_f16 v118, v69, 0xbbc4, -v118
	v_add_f16_e32 v78, v149, v82
	v_add_f16_e32 v55, v105, v55
	;; [unrolled: 1-line block ×9, first 2 shown]
	v_mul_f16_e32 v52, 0x3a95, v1
	v_fma_f16 v53, v26, 0xb5ac, -v34
	v_add_f16_e32 v36, v36, v20
	v_fmamk_f16 v20, v5, 0xb5ac, v45
	v_fmac_f16_e32 v34, 0xb5ac, v26
	v_fma_f16 v45, v5, 0xb5ac, -v45
	v_add_f16_e32 v79, v150, v83
	v_fma_f16 v169, v68, 0xb5ac, -v71
	v_add_f16_e32 v74, v159, v78
	v_add_f16_e32 v55, v115, v55
	;; [unrolled: 1-line block ×4, first 2 shown]
	v_fmac_f16_e32 v37, 0xb9fd, v26
	v_fmamk_f16 v43, v5, 0x388b, v52
	v_fma_f16 v52, v5, 0x388b, -v52
	v_add_f16_e32 v20, v20, v21
	v_mul_f16_e32 v21, 0x3bf1, v72
	v_mul_f16_e32 v1, 0x3bf1, v1
	v_add_f16_e32 v27, v34, v27
	v_add_f16_e32 v34, v45, v58
	v_mov_b32_e32 v45, 0xdd
	v_fmamk_f16 v170, v69, 0xb5ac, v70
	v_add_f16_e32 v75, v160, v79
	v_add_f16_e32 v46, v67, v46
	v_fmac_f16_e32 v71, 0xb5ac, v68
	v_add_f16_e32 v7, v7, v22
	v_add_f16_e32 v22, v169, v74
	;; [unrolled: 1-line block ×5, first 2 shown]
	v_fma_f16 v52, v26, 0x2fb7, -v21
	v_fmamk_f16 v53, v5, 0x2fb7, v1
	v_fma_f16 v1, v5, 0x2fb7, -v1
	v_mul_u32_u24_sdwa v4, v4, v45 dst_sel:DWORD dst_unused:UNUSED_PAD src0_sel:WORD_0 src1_sel:DWORD
	v_add_f16_e32 v59, v170, v75
	v_add_f16_e32 v46, v71, v46
	v_fmac_f16_e32 v21, 0x2fb7, v26
	v_add_f16_e32 v43, v43, v56
	v_add_f16_e32 v5, v52, v22
	v_add_f16_e32 v0, v1, v0
	v_add_lshl_u32 v52, v4, v3, 2
	v_pack_b32_f16 v1, v25, v7
	v_pack_b32_f16 v3, v23, v62
	v_add_f16_e32 v22, v53, v59
	v_add_f16_e32 v21, v21, v46
	v_pack_b32_f16 v4, v40, v6
	v_pack_b32_f16 v6, v44, v41
	ds_write2_b32 v52, v1, v3 offset1:17
	ds_write2_b32 v52, v4, v6 offset0:34 offset1:51
	v_pack_b32_f16 v1, v24, v43
	v_pack_b32_f16 v3, v33, v20
	;; [unrolled: 1-line block ×4, first 2 shown]
	v_add_nc_u32_e32 v56, 0x680, v49
	v_pack_b32_f16 v5, v27, v34
	v_pack_b32_f16 v6, v36, v55
	v_add_nc_u32_e32 v57, 0xd80, v49
	v_pack_b32_f16 v7, v37, v61
	v_pack_b32_f16 v20, v38, v60
	v_add_nc_u32_e32 v58, 0x1480, v49
	v_pack_b32_f16 v21, v39, v54
	ds_write2_b32 v52, v1, v3 offset0:68 offset1:85
	ds_write2_b32 v52, v4, v0 offset0:102 offset1:119
	;; [unrolled: 1-line block ×4, first 2 shown]
	ds_write_b32 v52, v21 offset:816
	s_waitcnt lgkmcnt(0)
	s_barrier
	buffer_gl0_inv
	ds_read2_b32 v[43:44], v49 offset1:221
	ds_read2_b32 v[45:46], v56 offset0:26 offset1:247
	ds_read2_b32 v[40:41], v57 offset0:20 offset1:241
	;; [unrolled: 1-line block ×3, first 2 shown]
	ds_read_b32 v59, v49 offset:7072
                                        ; implicit-def: $vgpr62
                                        ; implicit-def: $vgpr63
	s_and_saveexec_b32 s1, s0
	s_cbranch_execz .LBB0_9
; %bb.8:
	v_add_nc_u32_e32 v0, 0x200, v49
	v_add_nc_u32_e32 v1, 0x900, v49
	ds_read2_b32 v[31:32], v2 offset0:7 offset1:228
	v_add_nc_u32_e32 v2, 0x1000, v49
	ds_read2_b32 v[36:37], v0 offset0:25 offset1:246
	ds_read2_b32 v[38:39], v1 offset0:19 offset1:240
	;; [unrolled: 1-line block ×3, first 2 shown]
	ds_read_b32 v62, v49 offset:7684
	s_waitcnt lgkmcnt(4)
	v_lshrrev_b32_e32 v35, 16, v31
	v_lshrrev_b32_e32 v42, 16, v32
	s_waitcnt lgkmcnt(3)
	v_lshrrev_b32_e32 v55, 16, v36
	v_lshrrev_b32_e32 v61, 16, v37
	;; [unrolled: 3-line block ×4, first 2 shown]
	s_waitcnt lgkmcnt(0)
	v_lshrrev_b32_e32 v63, 16, v62
.LBB0_9:
	s_or_b32 exec_lo, exec_lo, s1
	v_lshlrev_b32_e32 v0, 5, v50
	s_waitcnt lgkmcnt(4)
	v_lshrrev_b32_e32 v64, 16, v44
	s_waitcnt lgkmcnt(3)
	v_lshrrev_b32_e32 v65, 16, v45
	;; [unrolled: 2-line block ×3, first 2 shown]
	v_lshrrev_b32_e32 v68, 16, v41
	s_clause 0x1
	global_load_dwordx4 v[24:27], v0, s[2:3] offset:816
	global_load_dwordx4 v[20:23], v0, s[2:3] offset:832
	v_add_co_u32 v0, s1, 0x99, v50
	v_add_co_ci_u32_e64 v1, null, 0, 0, s1
	v_add_co_u32 v2, s1, 0xffffffbc, v50
	v_add_co_ci_u32_e64 v3, null, 0, -1, s1
	s_waitcnt lgkmcnt(1)
	v_lshrrev_b32_e32 v70, 16, v34
	v_cndmask_b32_e64 v0, v2, v0, s0
	s_waitcnt lgkmcnt(0)
	v_lshrrev_b32_e32 v71, 16, v59
	v_cndmask_b32_e64 v1, v3, v1, s0
	v_lshrrev_b32_e32 v66, 16, v46
	v_lshrrev_b32_e32 v69, 16, v33
	;; [unrolled: 1-line block ×3, first 2 shown]
	v_lshlrev_b64 v[0:1], 5, v[0:1]
	v_add_co_u32 v4, s1, s2, v0
	v_add_co_ci_u32_e64 v5, s1, s3, v1, s1
	s_clause 0x1
	global_load_dwordx4 v[0:3], v[4:5], off offset:816
	global_load_dwordx4 v[4:7], v[4:5], off offset:832
	s_waitcnt vmcnt(3)
	v_mul_f16_sdwa v72, v64, v24 dst_sel:DWORD dst_unused:UNUSED_PAD src0_sel:DWORD src1_sel:WORD_1
	v_mul_f16_sdwa v73, v44, v24 dst_sel:DWORD dst_unused:UNUSED_PAD src0_sel:DWORD src1_sel:WORD_1
	;; [unrolled: 1-line block ×6, first 2 shown]
	s_waitcnt vmcnt(2)
	v_mul_f16_sdwa v80, v68, v20 dst_sel:DWORD dst_unused:UNUSED_PAD src0_sel:DWORD src1_sel:WORD_1
	v_mul_f16_sdwa v81, v41, v20 dst_sel:DWORD dst_unused:UNUSED_PAD src0_sel:DWORD src1_sel:WORD_1
	;; [unrolled: 1-line block ×10, first 2 shown]
	v_fma_f16 v44, v44, v24, -v72
	v_fmac_f16_e32 v73, v64, v24
	v_fma_f16 v45, v45, v25, -v74
	v_fmac_f16_e32 v75, v65, v25
	;; [unrolled: 2-line block ×8, first 2 shown]
	v_add_f16_e32 v67, v44, v59
	v_add_f16_e32 v68, v73, v87
	;; [unrolled: 1-line block ×4, first 2 shown]
	v_sub_f16_e32 v44, v44, v59
	v_sub_f16_e32 v64, v73, v87
	;; [unrolled: 1-line block ×4, first 2 shown]
	v_add_f16_e32 v74, v40, v41
	v_add_f16_e32 v69, v46, v33
	;; [unrolled: 1-line block ×3, first 2 shown]
	v_sub_f16_e32 v45, v45, v34
	v_sub_f16_e32 v71, v75, v85
	v_sub_f16_e32 v33, v46, v33
	v_sub_f16_e32 v46, v77, v83
	v_add_f16_e32 v75, v79, v81
	v_mul_f16_e32 v76, 0x3924, v44
	v_mul_f16_e32 v77, 0x3924, v64
	v_fmamk_f16 v80, v68, 0x3a21, v53
	v_mul_f16_e32 v82, 0xb924, v72
	v_mul_f16_e32 v83, 0xb924, v73
	v_fmamk_f16 v84, v74, 0x3a21, v43
	v_add_f16_e32 v88, v65, v67
	v_add_f16_e32 v89, v66, v68
	v_mul_f16_e32 v90, 0x3be1, v72
	v_mul_f16_e32 v91, 0x3be1, v73
	s_waitcnt vmcnt(1)
	v_mul_f16_sdwa v92, v61, v0 dst_sel:DWORD dst_unused:UNUSED_PAD src0_sel:DWORD src1_sel:WORD_1
	v_mul_f16_sdwa v93, v37, v0 dst_sel:DWORD dst_unused:UNUSED_PAD src0_sel:DWORD src1_sel:WORD_1
	;; [unrolled: 1-line block ×5, first 2 shown]
	s_waitcnt vmcnt(0)
	v_mul_f16_sdwa v100, v47, v4 dst_sel:DWORD dst_unused:UNUSED_PAD src0_sel:DWORD src1_sel:WORD_1
	v_mul_f16_sdwa v103, v31, v5 dst_sel:DWORD dst_unused:UNUSED_PAD src0_sel:DWORD src1_sel:WORD_1
	;; [unrolled: 1-line block ×6, first 2 shown]
	v_add_f16_e32 v86, v72, v44
	v_add_f16_e32 v87, v73, v64
	v_add_f16_e32 v34, v69, v43
	v_add_f16_e32 v59, v70, v53
	v_mul_f16_sdwa v96, v54, v2 dst_sel:DWORD dst_unused:UNUSED_PAD src0_sel:DWORD src1_sel:WORD_1
	v_mul_f16_sdwa v97, v39, v2 dst_sel:DWORD dst_unused:UNUSED_PAD src0_sel:DWORD src1_sel:WORD_1
	v_mul_f16_sdwa v99, v29, v3 dst_sel:DWORD dst_unused:UNUSED_PAD src0_sel:DWORD src1_sel:WORD_1
	v_mul_f16_sdwa v101, v30, v4 dst_sel:DWORD dst_unused:UNUSED_PAD src0_sel:DWORD src1_sel:WORD_1
	v_mul_f16_sdwa v102, v35, v5 dst_sel:DWORD dst_unused:UNUSED_PAD src0_sel:DWORD src1_sel:WORD_1
	v_fmac_f16_e32 v76, 0x3be1, v45
	v_fmac_f16_e32 v77, 0x3be1, v71
	;; [unrolled: 1-line block ×6, first 2 shown]
	v_add_f16_e32 v108, v74, v88
	v_add_f16_e32 v109, v75, v89
	v_fma_f16 v90, v45, 0xb924, -v90
	v_fma_f16 v91, v71, 0xb924, -v91
	v_add_f16_e32 v88, v69, v88
	v_add_f16_e32 v89, v70, v89
	v_fma_f16 v37, v37, v0, -v92
	v_fmac_f16_e32 v93, v61, v0
	v_fma_f16 v38, v38, v1, -v94
	v_fmac_f16_e32 v95, v60, v1
	v_fma_f16 v29, v29, v3, -v98
	v_fma_f16 v30, v30, v4, -v100
	v_fmac_f16_e32 v103, v35, v5
	v_fma_f16 v32, v32, v6, -v104
	v_fmac_f16_e32 v105, v42, v6
	;; [unrolled: 2-line block ×3, first 2 shown]
	v_sub_f16_e32 v86, v86, v45
	v_sub_f16_e32 v87, v87, v71
	v_fma_f16 v39, v39, v2, -v96
	v_fmac_f16_e32 v97, v54, v2
	v_fmac_f16_e32 v99, v48, v3
	;; [unrolled: 1-line block ×3, first 2 shown]
	v_fma_f16 v31, v31, v5, -v102
	v_fmac_f16_e32 v76, 0x3aee, v33
	v_fmac_f16_e32 v77, 0x3aee, v46
	v_fmac_f16_e32 v80, -0.5, v70
	v_fmac_f16_e32 v82, 0xbaee, v33
	v_fmac_f16_e32 v83, 0xbaee, v46
	v_fmac_f16_e32 v84, -0.5, v69
	v_fmac_f16_e32 v34, -0.5, v108
	;; [unrolled: 1-line block ×3, first 2 shown]
	v_fmac_f16_e32 v90, 0x3aee, v33
	v_fmac_f16_e32 v91, 0x3aee, v46
	v_add_f16_e32 v33, v40, v88
	v_add_f16_e32 v40, v79, v89
	;; [unrolled: 1-line block ×6, first 2 shown]
	v_sub_f16_e32 v92, v37, v35
	v_sub_f16_e32 v96, v29, v30
	v_mul_f16_e32 v42, 0x3aee, v86
	v_mul_f16_e32 v47, 0x3aee, v87
	v_add_f16_e32 v88, v39, v31
	v_add_f16_e32 v89, v97, v103
	v_sub_f16_e32 v32, v38, v32
	v_sub_f16_e32 v94, v95, v105
	v_add_f16_e32 v98, v29, v30
	v_add_f16_e32 v100, v99, v101
	v_fmac_f16_e32 v76, 0x3579, v72
	v_fmac_f16_e32 v77, 0x3579, v73
	;; [unrolled: 1-line block ×7, first 2 shown]
	v_mul_f16_e32 v73, 0x3924, v92
	v_mul_f16_e32 v86, 0xb924, v96
	v_add_f16_e32 v72, v46, v48
	v_add_f16_e32 v104, v54, v79
	v_mul_f16_e32 v105, 0x3be1, v96
	v_fmamk_f16 v78, v67, 0x3a21, v43
	v_fmamk_f16 v85, v75, 0x3a21, v53
	v_sub_f16_e32 v31, v39, v31
	v_fmac_f16_e32 v91, 0x3579, v64
	v_add_f16_e32 v37, v41, v33
	v_sub_f16_e32 v64, v80, v76
	v_add_f16_e32 v33, v83, v84
	v_fma_f16 v39, -2.0, v47, v34
	v_fmac_f16_e32 v73, 0x3be1, v32
	v_fmac_f16_e32 v86, 0x3be1, v92
	v_add_f16_e32 v47, v98, v72
	v_add_f16_e32 v80, v100, v104
	v_fma_f16 v84, v32, 0xb924, -v105
	v_add_f16_e32 v72, v88, v72
	v_add_f16_e32 v104, v89, v104
	v_fmac_f16_e32 v78, 0x318f, v65
	v_fmac_f16_e32 v85, 0x318f, v68
	v_add_f16_e32 v41, v96, v92
	v_add_f16_e32 v60, v55, v89
	v_fmac_f16_e32 v73, 0x3aee, v31
	v_fmac_f16_e32 v86, 0xbaee, v31
	;; [unrolled: 1-line block ×3, first 2 shown]
	v_add_f16_e32 v29, v29, v72
	v_add_f16_e32 v31, v99, v104
	v_sub_f16_e32 v93, v93, v107
	v_add_f16_e32 v40, v81, v40
	v_fmac_f16_e32 v78, -0.5, v69
	v_fmac_f16_e32 v85, -0.5, v70
	v_sub_f16_e32 v95, v97, v103
	v_sub_f16_e32 v97, v99, v101
	v_fmamk_f16 v71, v79, 0x3a21, v55
	v_fma_f16 v62, 2.0, v42, v59
	v_add_f16_e32 v37, v37, v43
	v_fmac_f16_e32 v43, 0x3a21, v65
	v_sub_f16_e32 v42, v41, v32
	v_fmac_f16_e32 v60, -0.5, v80
	v_add_f16_e32 v29, v30, v29
	v_add_f16_e32 v30, v101, v31
	v_fmac_f16_e32 v90, 0x3579, v44
	v_mul_f16_e32 v81, 0x3924, v93
	v_fmamk_f16 v44, v48, 0x3a21, v36
	v_add_f16_e32 v61, v40, v53
	v_fmac_f16_e32 v53, 0x3a21, v66
	v_fmac_f16_e32 v78, 0xbb84, v74
	;; [unrolled: 1-line block ×4, first 2 shown]
	v_mul_f16_e32 v87, 0xb924, v97
	v_fmamk_f16 v102, v98, 0x3a21, v36
	v_fmamk_f16 v103, v100, 0x3a21, v55
	v_add_f16_e32 v35, v36, v88
	v_mul_f16_e32 v106, 0x3be1, v97
	v_fmac_f16_e32 v71, 0x318f, v54
	v_fmac_f16_e32 v43, 0x318f, v74
	v_mul_f16_e32 v74, 0x3aee, v42
	v_fmac_f16_e32 v60, 0xbaee, v42
	v_add_f16_e32 v42, v36, v29
	v_add_f16_e32 v72, v55, v30
	v_fmac_f16_e32 v36, 0x3a21, v46
	v_fmac_f16_e32 v55, 0x3a21, v54
	v_add_f16_e32 v45, v97, v93
	v_fmac_f16_e32 v81, 0x3be1, v94
	v_fmac_f16_e32 v44, 0x318f, v46
	;; [unrolled: 1-line block ×3, first 2 shown]
	v_sub_f16_e32 v63, v85, v82
	v_fmac_f16_e32 v87, 0x3be1, v93
	v_fmac_f16_e32 v102, 0x318f, v48
	v_fmac_f16_e32 v103, 0x318f, v79
	v_fma_f16 v85, v94, 0xb924, -v106
	v_fmac_f16_e32 v71, -0.5, v89
	v_fmac_f16_e32 v36, 0x318f, v98
	v_fmac_f16_e32 v55, 0x318f, v100
	v_sub_f16_e32 v45, v45, v94
	v_fmac_f16_e32 v81, 0x3aee, v95
	v_fmac_f16_e32 v44, -0.5, v88
	v_fmac_f16_e32 v35, -0.5, v47
	;; [unrolled: 1-line block ×4, first 2 shown]
	v_fmac_f16_e32 v87, 0xbaee, v95
	v_fmac_f16_e32 v102, -0.5, v88
	v_fmac_f16_e32 v103, -0.5, v89
	v_fmac_f16_e32 v85, 0x3aee, v95
	v_fmac_f16_e32 v73, 0x3579, v96
	;; [unrolled: 1-line block ×3, first 2 shown]
	v_fmac_f16_e32 v36, -0.5, v88
	v_fmac_f16_e32 v55, -0.5, v89
	v_mul_f16_e32 v75, 0x3aee, v45
	v_fmac_f16_e32 v81, 0x3579, v97
	v_fmac_f16_e32 v44, 0xbb84, v98
	;; [unrolled: 1-line block ×11, first 2 shown]
	v_sub_f16_e32 v71, v71, v73
	v_fmac_f16_e32 v36, 0xbb84, v48
	v_fmac_f16_e32 v55, 0xbb84, v79
	v_add_f16_e32 v45, v81, v44
	v_fma_f16 v44, -2.0, v75, v35
	v_add_f16_e32 v47, v91, v43
	v_sub_f16_e32 v75, v53, v90
	v_add_f16_e32 v38, v77, v78
	v_add_f16_e32 v46, v87, v102
	v_sub_f16_e32 v70, v103, v86
	v_fma_f16 v54, 2.0, v73, v71
	v_add_f16_e32 v36, v85, v36
	v_sub_f16_e32 v73, v55, v84
	v_fma_f16 v65, 2.0, v76, v64
	v_fma_f16 v48, -2.0, v91, v47
	v_fma_f16 v76, 2.0, v90, v75
	v_fma_f16 v40, -2.0, v83, v33
	;; [unrolled: 2-line block ×3, first 2 shown]
	v_pack_b32_f16 v77, v37, v61
	v_pack_b32_f16 v82, v38, v64
	v_fma_f16 v68, 2.0, v74, v60
	v_fma_f16 v53, -2.0, v81, v45
	v_fma_f16 v67, -2.0, v87, v46
	v_fma_f16 v69, 2.0, v86, v70
	v_fma_f16 v43, -2.0, v85, v36
	v_fma_f16 v74, 2.0, v84, v73
	v_pack_b32_f16 v78, v34, v59
	v_pack_b32_f16 v83, v33, v63
	;; [unrolled: 1-line block ×7, first 2 shown]
	ds_write2_b32 v49, v77, v82 offset1:221
	ds_write2_b32 v56, v83, v78 offset0:26 offset1:247
	ds_write2_b32 v57, v29, v30 offset0:20 offset1:241
	;; [unrolled: 1-line block ×3, first 2 shown]
	ds_write_b32 v49, v95 offset:7072
	s_and_saveexec_b32 s1, s0
	s_cbranch_execz .LBB0_11
; %bb.10:
	v_perm_b32 v29, v72, v42, 0x5040100
	v_perm_b32 v30, v71, v45, 0x5040100
	v_add_nc_u32_e32 v31, 0x200, v49
	v_perm_b32 v32, v70, v46, 0x5040100
	v_perm_b32 v55, v60, v35, 0x5040100
	v_add_nc_u32_e32 v56, 0x900, v49
	;; [unrolled: 3-line block ×4, first 2 shown]
	v_perm_b32 v81, v54, v53, 0x5040100
	ds_write2_b32 v31, v29, v30 offset0:25 offset1:246
	ds_write2_b32 v56, v32, v55 offset0:19 offset1:240
	ds_write2_b32 v77, v57, v58 offset0:13 offset1:234
	ds_write2_b32 v80, v78, v79 offset0:7 offset1:228
	ds_write_b32 v49, v81 offset:7684
.LBB0_11:
	s_or_b32 exec_lo, exec_lo, s1
	s_waitcnt lgkmcnt(0)
	s_barrier
	buffer_gl0_inv
	s_and_saveexec_b32 s2, vcc_lo
	s_cbranch_execz .LBB0_13
; %bb.12:
	v_add_co_u32 v55, s1, s12, v49
	v_add_co_ci_u32_e64 v56, null, s13, 0, s1
	v_add_nc_u32_e32 v101, 0x400, v49
	v_add_co_u32 v29, s1, 0x1800, v55
	v_add_co_ci_u32_e64 v30, s1, 0, v56, s1
	v_add_nc_u32_e32 v102, 0x800, v49
	v_add_nc_u32_e32 v103, 0xc00, v49
	;; [unrolled: 1-line block ×3, first 2 shown]
	global_load_dword v57, v[29:30], off offset:1812
	v_add_co_u32 v29, s1, 0x1f14, v55
	v_add_co_ci_u32_e64 v30, s1, 0, v56, s1
	v_add_co_u32 v31, s1, 0x2800, v55
	v_add_co_ci_u32_e64 v32, s1, 0, v56, s1
	s_clause 0x6
	global_load_dword v85, v[29:30], off offset:468
	global_load_dword v86, v[29:30], off offset:936
	;; [unrolled: 1-line block ×7, first 2 shown]
	v_add_co_u32 v29, s1, 0x3000, v55
	v_add_co_ci_u32_e64 v30, s1, 0, v56, s1
	s_clause 0x3
	global_load_dword v92, v[31:32], off offset:1460
	global_load_dword v93, v[31:32], off offset:1928
	;; [unrolled: 1-line block ×4, first 2 shown]
	v_add_co_u32 v31, s1, 0x3800, v55
	v_add_co_ci_u32_e64 v32, s1, 0, v56, s1
	s_clause 0x4
	global_load_dword v96, v[29:30], off offset:1284
	global_load_dword v97, v[29:30], off offset:1752
	;; [unrolled: 1-line block ×5, first 2 shown]
	ds_read_b32 v29, v49
	v_add_nc_u32_e32 v105, 0x1400, v49
	v_add_nc_u32_e32 v106, 0x1600, v49
	v_add_nc_u32_e32 v107, 0x1a00, v49
	s_waitcnt lgkmcnt(0)
	v_lshrrev_b32_e32 v30, 16, v29
	s_waitcnt vmcnt(16)
	v_mul_f16_sdwa v31, v30, v57 dst_sel:DWORD dst_unused:UNUSED_PAD src0_sel:DWORD src1_sel:WORD_1
	v_mul_f16_sdwa v32, v29, v57 dst_sel:DWORD dst_unused:UNUSED_PAD src0_sel:DWORD src1_sel:WORD_1
	v_fma_f16 v29, v29, v57, -v31
	v_fmac_f16_e32 v32, v30, v57
	v_pack_b32_f16 v29, v29, v32
	ds_write_b32 v49, v29
	ds_read2_b32 v[29:30], v49 offset0:117 offset1:234
	ds_read2_b32 v[31:32], v101 offset0:95 offset1:212
	;; [unrolled: 1-line block ×8, first 2 shown]
	s_waitcnt lgkmcnt(7)
	v_lshrrev_b32_e32 v108, 16, v29
	s_waitcnt vmcnt(15)
	v_mul_f16_sdwa v109, v29, v85 dst_sel:DWORD dst_unused:UNUSED_PAD src0_sel:DWORD src1_sel:WORD_1
	v_lshrrev_b32_e32 v110, 16, v30
	s_waitcnt vmcnt(14)
	v_mul_f16_sdwa v111, v30, v86 dst_sel:DWORD dst_unused:UNUSED_PAD src0_sel:DWORD src1_sel:WORD_1
	s_waitcnt lgkmcnt(6)
	v_lshrrev_b32_e32 v112, 16, v31
	s_waitcnt vmcnt(13)
	v_mul_f16_sdwa v113, v31, v87 dst_sel:DWORD dst_unused:UNUSED_PAD src0_sel:DWORD src1_sel:WORD_1
	v_lshrrev_b32_e32 v114, 16, v32
	s_waitcnt vmcnt(9)
	v_mul_f16_sdwa v115, v32, v91 dst_sel:DWORD dst_unused:UNUSED_PAD src0_sel:DWORD src1_sel:WORD_1
	s_waitcnt lgkmcnt(5)
	v_lshrrev_b32_e32 v116, 16, v55
	v_mul_f16_sdwa v117, v55, v88 dst_sel:DWORD dst_unused:UNUSED_PAD src0_sel:DWORD src1_sel:WORD_1
	v_lshrrev_b32_e32 v118, 16, v56
	v_mul_f16_sdwa v119, v56, v89 dst_sel:DWORD dst_unused:UNUSED_PAD src0_sel:DWORD src1_sel:WORD_1
	s_waitcnt lgkmcnt(4)
	v_lshrrev_b32_e32 v120, 16, v57
	v_mul_f16_sdwa v121, v57, v90 dst_sel:DWORD dst_unused:UNUSED_PAD src0_sel:DWORD src1_sel:WORD_1
	v_lshrrev_b32_e32 v122, 16, v58
	s_waitcnt vmcnt(8)
	v_mul_f16_sdwa v123, v58, v92 dst_sel:DWORD dst_unused:UNUSED_PAD src0_sel:DWORD src1_sel:WORD_1
	s_waitcnt lgkmcnt(3)
	v_lshrrev_b32_e32 v124, 16, v77
	s_waitcnt vmcnt(7)
	v_mul_f16_sdwa v125, v77, v93 dst_sel:DWORD dst_unused:UNUSED_PAD src0_sel:DWORD src1_sel:WORD_1
	v_lshrrev_b32_e32 v126, 16, v78
	s_waitcnt vmcnt(6)
	v_mul_f16_sdwa v127, v78, v94 dst_sel:DWORD dst_unused:UNUSED_PAD src0_sel:DWORD src1_sel:WORD_1
	s_waitcnt lgkmcnt(2)
	v_lshrrev_b32_e32 v128, 16, v79
	s_waitcnt vmcnt(5)
	;; [unrolled: 7-line block ×4, first 2 shown]
	v_mul_f16_sdwa v137, v83, v99 dst_sel:DWORD dst_unused:UNUSED_PAD src0_sel:DWORD src1_sel:WORD_1
	v_lshrrev_b32_e32 v138, 16, v84
	v_mul_f16_sdwa v140, v108, v85 dst_sel:DWORD dst_unused:UNUSED_PAD src0_sel:DWORD src1_sel:WORD_1
	v_fmac_f16_e32 v109, v108, v85
	v_mul_f16_sdwa v108, v110, v86 dst_sel:DWORD dst_unused:UNUSED_PAD src0_sel:DWORD src1_sel:WORD_1
	v_fmac_f16_e32 v111, v110, v86
	;; [unrolled: 2-line block ×9, first 2 shown]
	v_mul_f16_sdwa v124, v126, v94 dst_sel:DWORD dst_unused:UNUSED_PAD src0_sel:DWORD src1_sel:WORD_1
	s_waitcnt vmcnt(0)
	v_mul_f16_sdwa v139, v84, v100 dst_sel:DWORD dst_unused:UNUSED_PAD src0_sel:DWORD src1_sel:WORD_1
	v_fmac_f16_e32 v127, v126, v94
	v_mul_f16_sdwa v126, v128, v95 dst_sel:DWORD dst_unused:UNUSED_PAD src0_sel:DWORD src1_sel:WORD_1
	v_fmac_f16_e32 v129, v128, v95
	;; [unrolled: 2-line block ×6, first 2 shown]
	v_mul_f16_sdwa v136, v138, v100 dst_sel:DWORD dst_unused:UNUSED_PAD src0_sel:DWORD src1_sel:WORD_1
	v_fma_f16 v29, v29, v85, -v140
	v_fma_f16 v30, v30, v86, -v108
	v_fma_f16 v31, v31, v87, -v110
	v_fma_f16 v32, v32, v91, -v112
	v_fma_f16 v55, v55, v88, -v114
	v_fma_f16 v56, v56, v89, -v116
	v_fma_f16 v57, v57, v90, -v118
	v_fma_f16 v58, v58, v92, -v120
	v_fma_f16 v77, v77, v93, -v122
	v_fma_f16 v78, v78, v94, -v124
	v_fmac_f16_e32 v139, v138, v100
	v_fma_f16 v79, v79, v95, -v126
	v_fma_f16 v80, v80, v96, -v128
	;; [unrolled: 1-line block ×6, first 2 shown]
	v_pack_b32_f16 v29, v29, v109
	v_pack_b32_f16 v30, v30, v111
	;; [unrolled: 1-line block ×16, first 2 shown]
	ds_write2_b32 v49, v29, v30 offset0:117 offset1:234
	ds_write2_b32 v101, v31, v32 offset0:95 offset1:212
	;; [unrolled: 1-line block ×8, first 2 shown]
.LBB0_13:
	s_or_b32 exec_lo, exec_lo, s2
	s_waitcnt lgkmcnt(0)
	s_barrier
	buffer_gl0_inv
	s_and_saveexec_b32 s1, vcc_lo
	s_cbranch_execz .LBB0_15
; %bb.14:
	v_add_nc_u32_e32 v29, 0x200, v49
	v_add_nc_u32_e32 v30, 0x600, v49
	;; [unrolled: 1-line block ×3, first 2 shown]
	ds_read2_b32 v[37:38], v49 offset1:117
	ds_read2_b32 v[33:34], v29 offset0:106 offset1:223
	v_add_nc_u32_e32 v29, 0xe00, v49
	ds_read2_b32 v[47:48], v30 offset0:84 offset1:201
	v_add_nc_u32_e32 v30, 0x1200, v49
	;; [unrolled: 2-line block ×4, first 2 shown]
	ds_read2_b32 v[45:46], v30 offset0:18 offset1:135
	ds_read2_b32 v[35:36], v31 offset0:124 offset1:241
	;; [unrolled: 1-line block ×3, first 2 shown]
	ds_read_b32 v67, v49 offset:7488
	s_waitcnt lgkmcnt(8)
	v_lshrrev_b32_e32 v61, 16, v37
	v_lshrrev_b32_e32 v64, 16, v38
	s_waitcnt lgkmcnt(7)
	v_lshrrev_b32_e32 v63, 16, v33
	v_lshrrev_b32_e32 v59, 16, v34
	;; [unrolled: 3-line block ×8, first 2 shown]
	s_waitcnt lgkmcnt(0)
	v_lshrrev_b32_e32 v69, 16, v67
.LBB0_15:
	s_or_b32 exec_lo, exec_lo, s1
	v_sub_f16_e32 v170, v64, v69
	v_add_f16_e32 v129, v69, v64
	v_add_f16_e32 v122, v67, v38
	v_sub_f16_e32 v171, v63, v68
	v_sub_f16_e32 v138, v38, v67
	v_mul_f16_e32 v77, 0xb5c8, v170
	v_mul_f16_e32 v86, 0x39e9, v129
	v_add_f16_e32 v136, v68, v63
	v_add_f16_e32 v126, v44, v33
	v_mul_f16_e32 v79, 0xb964, v171
	v_fma_f16 v29, v122, 0x3b76, -v77
	v_mul_f16_e32 v78, 0x3b76, v129
	v_mul_f16_e32 v83, 0xb964, v170
	v_fmamk_f16 v32, v138, 0xb964, v86
	v_mul_f16_e32 v101, 0xbbf7, v170
	v_add_f16_e32 v29, v37, v29
	v_sub_f16_e32 v142, v33, v44
	v_fma_f16 v81, v126, 0x39e9, -v79
	v_mul_f16_e32 v91, 0x2de8, v136
	v_mul_f16_e32 v89, 0xbb29, v170
	;; [unrolled: 1-line block ×3, first 2 shown]
	v_fmamk_f16 v30, v138, 0xb5c8, v78
	v_fma_f16 v31, v122, 0x39e9, -v83
	v_add_f16_e32 v32, v61, v32
	v_fma_f16 v57, v122, 0x2de8, -v101
	v_mul_f16_e32 v80, 0x39e9, v136
	v_mul_f16_e32 v87, 0xbbf7, v171
	v_add_f16_e32 v29, v81, v29
	v_fmamk_f16 v81, v142, 0xbbf7, v91
	v_mul_f16_e32 v109, 0xb1e1, v171
	v_fma_f16 v55, v122, 0x3722, -v89
	v_add_f16_e32 v30, v61, v30
	v_fmamk_f16 v56, v138, 0xbb29, v93
	v_add_f16_e32 v31, v37, v31
	v_mul_f16_e32 v114, 0x2de8, v129
	v_add_f16_e32 v57, v37, v57
	v_fmamk_f16 v82, v142, 0xb964, v80
	v_fma_f16 v84, v126, 0x2de8, -v87
	v_mul_f16_e32 v97, 0xba62, v171
	v_mul_f16_e32 v103, 0xb8d2, v136
	v_add_f16_e32 v32, v81, v32
	v_fma_f16 v81, v126, 0xbbdd, -v109
	v_sub_f16_e32 v173, v59, v74
	v_add_f16_e32 v55, v37, v55
	v_add_f16_e32 v56, v61, v56
	v_fmamk_f16 v58, v138, 0xbbf7, v114
	v_add_f16_e32 v30, v82, v30
	v_add_f16_e32 v31, v84, v31
	v_fma_f16 v82, v126, 0xb8d2, -v97
	v_mul_f16_e32 v121, 0xbbdd, v136
	v_fmamk_f16 v84, v142, 0xba62, v103
	v_add_f16_e32 v57, v81, v57
	v_add_f16_e32 v134, v43, v34
	v_mul_f16_e32 v81, 0xbb29, v173
	v_add_f16_e32 v58, v61, v58
	v_add_f16_e32 v55, v82, v55
	v_fmamk_f16 v82, v142, 0xb1e1, v121
	v_add_f16_e32 v56, v84, v56
	v_add_f16_e32 v143, v74, v59
	v_fma_f16 v84, v134, 0x3722, -v81
	v_mul_f16_e32 v104, 0x31e1, v173
	v_add_f16_e32 v58, v82, v58
	v_sub_f16_e32 v145, v34, v43
	v_mul_f16_e32 v82, 0x3722, v143
	v_mul_f16_e32 v94, 0xb8d2, v143
	v_add_f16_e32 v29, v84, v29
	v_fma_f16 v84, v134, 0xbbdd, -v104
	v_sub_f16_e32 v180, v75, v73
	v_mul_f16_e32 v92, 0xba62, v173
	v_fmamk_f16 v85, v145, 0xbb29, v82
	v_fmamk_f16 v90, v145, 0xba62, v94
	v_mul_f16_e32 v113, 0xbbdd, v143
	v_add_f16_e32 v55, v84, v55
	v_mul_f16_e32 v128, 0xb461, v143
	v_add_f16_e32 v139, v36, v47
	;; [unrolled: 2-line block ×3, first 2 shown]
	v_fma_f16 v88, v134, 0xb8d2, -v92
	v_add_f16_e32 v30, v85, v30
	v_add_f16_e32 v32, v90, v32
	v_mul_f16_e32 v118, 0x3bb2, v173
	v_fmamk_f16 v85, v145, 0x31e1, v113
	v_fmamk_f16 v90, v145, 0x3bb2, v128
	v_fma_f16 v95, v139, 0x2de8, -v84
	v_sub_f16_e32 v147, v47, v36
	v_mul_f16_e32 v99, 0xb1e1, v180
	v_mul_f16_e32 v102, 0xbbdd, v153
	v_add_f16_e32 v31, v88, v31
	v_fma_f16 v88, v134, 0xb461, -v118
	v_add_f16_e32 v56, v85, v56
	v_add_f16_e32 v58, v90, v58
	v_mul_f16_e32 v85, 0x2de8, v153
	v_add_f16_e32 v29, v95, v29
	v_mul_f16_e32 v107, 0x3bb2, v180
	v_fma_f16 v90, v139, 0xbbdd, -v99
	v_fmamk_f16 v95, v147, 0xb1e1, v102
	v_mul_f16_e32 v123, 0x35c8, v180
	v_add_f16_e32 v158, v60, v76
	v_add_f16_e32 v57, v88, v57
	v_fmamk_f16 v88, v147, 0xbbf7, v85
	v_mul_f16_e32 v120, 0xb461, v153
	v_fma_f16 v96, v139, 0xb461, -v107
	v_add_f16_e32 v31, v90, v31
	v_add_f16_e32 v32, v95, v32
	v_sub_f16_e32 v185, v76, v60
	v_mul_f16_e32 v132, 0x3b76, v153
	v_fma_f16 v95, v139, 0x3b76, -v123
	v_sub_f16_e32 v150, v48, v35
	v_mul_f16_e32 v90, 0xb461, v158
	v_add_f16_e32 v30, v88, v30
	v_fmamk_f16 v88, v147, 0x3bb2, v120
	v_add_f16_e32 v55, v96, v55
	v_add_f16_e32 v148, v35, v48
	v_fmamk_f16 v96, v147, 0x35c8, v132
	v_mul_f16_e32 v98, 0x3836, v185
	v_add_f16_e32 v57, v95, v57
	v_fmamk_f16 v95, v150, 0xbbb2, v90
	v_mul_f16_e32 v112, 0xbacd, v158
	v_add_f16_e32 v56, v88, v56
	v_mul_f16_e32 v88, 0xbbb2, v185
	v_add_f16_e32 v58, v96, v58
	v_fma_f16 v96, v148, 0xbacd, -v98
	v_add_f16_e32 v30, v95, v30
	v_mul_f16_e32 v116, 0x3964, v185
	v_fmamk_f16 v95, v150, 0x3836, v112
	v_mul_f16_e32 v130, 0xbb29, v185
	v_fma_f16 v100, v148, 0xb461, -v88
	v_add_f16_e32 v31, v96, v31
	v_mul_f16_e32 v127, 0x39e9, v158
	v_fma_f16 v96, v148, 0x39e9, -v116
	v_mul_f16_e32 v133, 0x3722, v158
	v_add_f16_e32 v32, v95, v32
	v_fma_f16 v95, v148, 0x3722, -v130
	v_sub_f16_e32 v191, v62, v70
	v_add_f16_e32 v29, v100, v29
	v_fmamk_f16 v100, v150, 0x3964, v127
	v_add_f16_e32 v55, v96, v55
	v_fmamk_f16 v96, v150, 0xbb29, v133
	v_add_f16_e32 v57, v95, v57
	v_add_f16_e32 v164, v70, v62
	;; [unrolled: 1-line block ×3, first 2 shown]
	v_mul_f16_e32 v95, 0xba62, v191
	v_add_f16_e32 v56, v100, v56
	v_add_f16_e32 v58, v96, v58
	v_sub_f16_e32 v156, v39, v46
	v_mul_f16_e32 v96, 0xb8d2, v164
	v_fma_f16 v100, v154, 0xb8d2, -v95
	v_mul_f16_e32 v124, 0xb5c8, v191
	v_mul_f16_e32 v106, 0x3bb2, v191
	;; [unrolled: 1-line block ×3, first 2 shown]
	v_fmamk_f16 v105, v156, 0xba62, v96
	v_add_f16_e32 v29, v100, v29
	v_fma_f16 v100, v154, 0x3b76, -v124
	v_mul_f16_e32 v135, 0x3b76, v164
	v_sub_f16_e32 v192, v66, v71
	v_fma_f16 v108, v154, 0xb461, -v106
	v_fmamk_f16 v110, v156, 0x3bb2, v119
	v_add_f16_e32 v30, v105, v30
	v_add_f16_e32 v55, v100, v55
	v_mul_f16_e32 v140, 0xb836, v191
	v_mul_f16_e32 v144, 0xbacd, v164
	v_fmamk_f16 v105, v156, 0xb5c8, v135
	v_add_f16_e32 v159, v45, v40
	v_mul_f16_e32 v100, 0xb836, v192
	v_add_f16_e32 v166, v71, v66
	v_add_f16_e32 v31, v108, v31
	;; [unrolled: 1-line block ×3, first 2 shown]
	v_fma_f16 v108, v154, 0xbacd, -v140
	v_fmamk_f16 v110, v156, 0xb836, v144
	v_add_f16_e32 v56, v105, v56
	v_fma_f16 v111, v159, 0xbacd, -v100
	v_sub_f16_e32 v161, v40, v45
	v_mul_f16_e32 v105, 0xbacd, v166
	v_mul_f16_e32 v115, 0x3b29, v192
	;; [unrolled: 1-line block ×3, first 2 shown]
	v_add_f16_e32 v57, v108, v57
	v_add_f16_e32 v58, v110, v58
	;; [unrolled: 1-line block ×3, first 2 shown]
	v_mul_f16_e32 v131, 0xbbf7, v192
	v_mul_f16_e32 v141, 0x2de8, v166
	v_fmamk_f16 v108, v161, 0xb836, v105
	v_fma_f16 v110, v159, 0x3722, -v115
	v_fmamk_f16 v111, v161, 0x3b29, v117
	v_sub_f16_e32 v193, v65, v72
	v_add_f16_e32 v165, v72, v65
	v_fma_f16 v125, v159, 0x2de8, -v131
	v_fmamk_f16 v137, v161, 0xbbf7, v141
	v_add_f16_e32 v149, v108, v30
	v_add_f16_e32 v31, v110, v31
	;; [unrolled: 1-line block ×3, first 2 shown]
	v_mul_f16_e32 v146, 0x3a62, v192
	v_add_f16_e32 v162, v42, v41
	v_sub_f16_e32 v163, v41, v42
	v_mul_f16_e32 v108, 0xb1e1, v193
	v_mul_f16_e32 v110, 0xbbdd, v165
	v_mul_f16_e32 v111, 0x35c8, v193
	v_add_f16_e32 v151, v125, v55
	v_add_f16_e32 v152, v137, v56
	v_mul_f16_e32 v155, 0xb8d2, v166
	v_fma_f16 v30, v159, 0xb8d2, -v146
	v_fma_f16 v56, v162, 0xbbdd, -v108
	v_fmamk_f16 v125, v163, 0xb1e1, v110
	v_fma_f16 v137, v162, 0x3b76, -v111
	v_fmamk_f16 v55, v161, 0x3a62, v155
	v_add_f16_e32 v57, v30, v57
	v_add_f16_e32 v30, v56, v29
	;; [unrolled: 1-line block ×3, first 2 shown]
	v_mul_f16_e32 v125, 0x3b76, v165
	v_add_f16_e32 v29, v137, v31
	v_mul_f16_e32 v137, 0xb836, v193
	v_mul_f16_e32 v149, 0xbacd, v165
	;; [unrolled: 1-line block ×4, first 2 shown]
	v_add_f16_e32 v167, v55, v58
	v_fmamk_f16 v31, v163, 0x35c8, v125
	v_fma_f16 v58, v162, 0xbacd, -v137
	v_fmamk_f16 v168, v163, 0xb836, v149
	v_fma_f16 v169, v162, 0x39e9, -v157
	v_fmamk_f16 v172, v163, 0x3964, v160
	v_add_f16_e32 v55, v31, v32
	v_add_f16_e32 v32, v58, v151
	;; [unrolled: 1-line block ×5, first 2 shown]
	s_barrier
	buffer_gl0_inv
	s_and_saveexec_b32 s1, vcc_lo
	s_cbranch_execz .LBB0_17
; %bb.16:
	v_mul_f16_e32 v190, 0xbbb2, v138
	v_mul_f16_e32 v189, 0x3836, v142
	;; [unrolled: 1-line block ×5, first 2 shown]
	v_fmamk_f16 v151, v129, 0xb461, v190
	v_fmamk_f16 v152, v136, 0xbacd, v189
	;; [unrolled: 1-line block ×3, first 2 shown]
	v_mul_f16_e32 v181, 0xb1e1, v150
	v_mul_f16_e32 v184, 0x3836, v171
	v_add_f16_e32 v151, v61, v151
	v_fma_f16 v168, v122, 0xb461, -v186
	v_mul_f16_e32 v178, 0x3bf7, v156
	v_mul_f16_e32 v183, 0x3964, v173
	;; [unrolled: 1-line block ×3, first 2 shown]
	v_add_f16_e32 v151, v152, v151
	v_fmamk_f16 v152, v153, 0x3722, v187
	v_fma_f16 v174, v126, 0xbacd, -v184
	v_add_f16_e32 v168, v37, v168
	v_mul_f16_e32 v175, 0xb5c8, v161
	v_add_f16_e32 v151, v167, v151
	v_fmamk_f16 v167, v158, 0xbbdd, v181
	v_mul_f16_e32 v179, 0xbb29, v180
	v_mul_f16_e32 v195, 0x3bb2, v142
	v_fma_f16 v176, v134, 0x39e9, -v183
	v_add_f16_e32 v151, v152, v151
	v_fmamk_f16 v152, v164, 0x2de8, v178
	v_add_f16_e32 v168, v174, v168
	v_mul_f16_e32 v177, 0xb1e1, v185
	v_mul_f16_e32 v196, 0xb5c8, v145
	v_add_f16_e32 v151, v167, v151
	v_fmamk_f16 v167, v129, 0xb8d2, v194
	v_fmamk_f16 v169, v166, 0x3b76, v175
	;; [unrolled: 1-line block ×3, first 2 shown]
	v_fma_f16 v174, v139, 0x3722, -v179
	v_add_f16_e32 v151, v152, v151
	v_add_f16_e32 v152, v61, v167
	;; [unrolled: 1-line block ×3, first 2 shown]
	v_mul_f16_e32 v197, 0xb836, v147
	v_mul_f16_e32 v198, 0x3bf7, v150
	v_add_f16_e32 v151, v169, v151
	v_add_f16_e32 v152, v182, v152
	v_fmamk_f16 v169, v143, 0x3b76, v196
	v_add_f16_e32 v168, v174, v168
	v_fma_f16 v174, v148, 0xbbdd, -v177
	v_mul_f16_e32 v182, 0x3bf7, v191
	v_mul_f16_e32 v176, 0xb5c8, v192
	v_add_f16_e32 v152, v169, v152
	v_fmamk_f16 v169, v153, 0xbacd, v197
	v_add_f16_e32 v168, v174, v168
	v_fma_f16 v174, v154, 0x2de8, -v182
	v_mul_f16_e32 v199, 0xb964, v156
	v_fma_f16 v200, v159, 0x3b76, -v176
	v_add_f16_e32 v152, v169, v152
	v_fmamk_f16 v169, v158, 0x2de8, v198
	v_add_f16_e32 v168, v174, v168
	v_mul_f16_e32 v174, 0xba62, v193
	v_mul_f16_e32 v172, 0xba62, v163
	v_mul_f16_e32 v201, 0xb1e1, v161
	v_add_f16_e32 v152, v169, v152
	v_fmamk_f16 v169, v164, 0x39e9, v199
	v_mul_f16_e32 v202, 0xba62, v170
	v_add_f16_e32 v168, v200, v168
	v_fma_f16 v200, v162, 0xb8d2, -v174
	v_fmamk_f16 v167, v165, 0xb8d2, v172
	v_add_f16_e32 v169, v169, v152
	v_fmamk_f16 v203, v166, 0xbbdd, v201
	v_fma_f16 v204, v122, 0xb8d2, -v202
	v_mul_f16_e32 v205, 0x3bb2, v171
	v_add_f16_e32 v152, v200, v168
	v_mul_f16_e32 v200, 0xb836, v138
	v_add_f16_e32 v151, v167, v151
	v_add_f16_e32 v167, v37, v204
	v_fma_f16 v168, v126, 0xb461, -v205
	v_mul_f16_e32 v204, 0xb5c8, v173
	v_add_f16_e32 v169, v203, v169
	v_fmamk_f16 v203, v129, 0xbacd, v200
	v_mul_f16_e32 v206, 0x3b29, v142
	v_add_f16_e32 v167, v168, v167
	v_fma_f16 v168, v134, 0x3b76, -v204
	v_mul_f16_e32 v207, 0xb836, v180
	v_add_f16_e32 v203, v61, v203
	v_fmamk_f16 v208, v136, 0x3722, v206
	v_mul_f16_e32 v209, 0xbbf7, v145
	v_add_f16_e32 v167, v168, v167
	v_fma_f16 v168, v139, 0xbacd, -v207
	v_mul_f16_e32 v210, 0x3bf7, v185
	v_add_f16_e32 v203, v208, v203
	v_fmamk_f16 v208, v143, 0x2de8, v209
	v_mul_f16_e32 v211, 0x3a62, v147
	v_add_f16_e32 v167, v168, v167
	v_fma_f16 v168, v148, 0x2de8, -v210
	v_mul_f16_e32 v212, 0xb964, v191
	v_add_f16_e32 v203, v208, v203
	v_fmamk_f16 v208, v153, 0xb8d2, v211
	v_mul_f16_e32 v213, 0xb5c8, v150
	v_add_f16_e32 v167, v168, v167
	v_fma_f16 v168, v154, 0x39e9, -v212
	v_mul_f16_e32 v214, 0xb1e1, v192
	v_add_f16_e32 v203, v208, v203
	v_mul_f16_e32 v208, 0xb836, v170
	v_fmamk_f16 v215, v158, 0x3b76, v213
	v_mul_f16_e32 v216, 0xb1e1, v156
	v_add_f16_e32 v167, v168, v167
	v_fma_f16 v168, v159, 0xbbdd, -v214
	v_fma_f16 v217, v122, 0xbacd, -v208
	v_mul_f16_e32 v218, 0x3b29, v171
	v_add_f16_e32 v203, v215, v203
	v_fmamk_f16 v215, v164, 0xbbdd, v216
	v_add_f16_e32 v168, v168, v167
	v_add_f16_e32 v167, v37, v217
	v_fma_f16 v217, v126, 0x3722, -v218
	v_mul_f16_e32 v219, 0xbbf7, v173
	v_add_f16_e32 v203, v215, v203
	v_mul_f16_e32 v215, 0x3b29, v163
	v_mul_f16_e32 v221, 0x3a62, v180
	v_add_f16_e32 v167, v217, v167
	v_fma_f16 v217, v134, 0x2de8, -v219
	v_mul_f16_e32 v224, 0x3964, v161
	v_fmamk_f16 v222, v165, 0x3722, v215
	v_fma_f16 v225, v139, 0xb8d2, -v221
	v_mul_f16_e32 v220, 0x3b29, v193
	v_add_f16_e32 v217, v217, v167
	v_mul_f16_e32 v226, 0xb5c8, v185
	v_add_f16_e32 v167, v222, v169
	v_fmamk_f16 v169, v166, 0x39e9, v224
	v_fma_f16 v223, v162, 0x3722, -v220
	v_add_f16_e32 v217, v225, v217
	v_mul_f16_e32 v225, 0xb1e1, v138
	v_mul_f16_e32 v230, 0x35c8, v142
	v_add_f16_e32 v169, v169, v203
	v_mul_f16_e32 v203, 0xbbb2, v163
	v_add_f16_e32 v168, v223, v168
	v_fmamk_f16 v229, v129, 0xbbdd, v225
	v_fma_f16 v222, v148, 0x3b76, -v226
	v_mul_f16_e32 v223, 0xb1e1, v191
	v_fmamk_f16 v228, v165, 0xb461, v203
	v_mul_f16_e32 v231, 0xb836, v145
	v_mul_f16_e32 v227, 0x3964, v192
	v_add_f16_e32 v217, v222, v217
	v_fma_f16 v222, v154, 0xbbdd, -v223
	v_add_f16_e32 v169, v228, v169
	v_add_f16_e32 v228, v61, v229
	v_fmamk_f16 v229, v136, 0x3b76, v230
	v_mul_f16_e32 v232, 0xb1e1, v170
	v_add_f16_e32 v217, v222, v217
	v_fma_f16 v222, v159, 0x39e9, -v227
	v_mul_f16_e32 v235, 0x35c8, v171
	v_add_f16_e32 v170, v229, v228
	v_fmamk_f16 v228, v143, 0xbacd, v231
	v_mul_f16_e32 v229, 0x3964, v147
	v_fma_f16 v234, v122, 0xbbdd, -v232
	v_add_f16_e32 v217, v222, v217
	v_mul_f16_e32 v222, 0xbbb2, v193
	v_add_f16_e32 v170, v228, v170
	v_fmamk_f16 v171, v153, 0x39e9, v229
	v_mul_f16_e32 v228, 0xba62, v150
	v_add_f16_e32 v234, v37, v234
	v_fma_f16 v236, v126, 0x3b76, -v235
	v_mul_f16_e32 v237, 0xb836, v173
	v_add_f16_e32 v170, v171, v170
	v_fmamk_f16 v171, v158, 0xb8d2, v228
	v_mul_f16_e32 v238, 0x3b29, v156
	v_fma_f16 v233, v162, 0xb461, -v222
	v_add_f16_e32 v173, v236, v234
	v_fma_f16 v234, v134, 0xbacd, -v237
	v_mul_f16_e32 v236, 0x3964, v180
	v_add_f16_e32 v171, v171, v170
	v_fmamk_f16 v180, v164, 0x3722, v238
	v_add_f16_e32 v170, v233, v217
	v_add_f16_e32 v173, v234, v173
	v_fma_f16 v217, v139, 0x39e9, -v236
	v_mul_f16_e32 v233, 0xba62, v185
	v_add_f16_e32 v180, v180, v171
	v_fma_f16 v171, v129, 0xbbdd, -v225
	v_mul_f16_e32 v191, 0x3b29, v191
	v_add_f16_e32 v173, v217, v173
	v_fma_f16 v217, v148, 0xb8d2, -v233
	v_fma_f16 v225, v136, 0x3b76, -v230
	v_add_f16_e32 v171, v61, v171
	v_mul_f16_e32 v185, 0xbbb2, v161
	v_mul_f16_e32 v192, 0xbbb2, v192
	v_add_f16_e32 v173, v217, v173
	v_fma_f16 v217, v154, 0x3722, -v191
	v_add_f16_e32 v225, v225, v171
	v_fma_f16 v231, v143, 0xbacd, -v231
	v_fmamk_f16 v230, v166, 0xb461, v185
	v_mul_f16_e32 v234, 0x3bf7, v163
	v_add_f16_e32 v173, v217, v173
	v_fma_f16 v217, v159, 0xb461, -v192
	v_mul_f16_e32 v171, 0x3bf7, v193
	v_add_f16_e32 v193, v231, v225
	v_fma_f16 v225, v153, 0x39e9, -v229
	v_add_f16_e32 v180, v230, v180
	v_fmamk_f16 v229, v165, 0x2de8, v234
	v_add_f16_e32 v217, v217, v173
	v_fma_f16 v230, v162, 0x2de8, -v171
	v_add_f16_e32 v193, v225, v193
	v_fma_f16 v225, v158, 0xb8d2, -v228
	v_fma_f16 v200, v129, 0xbacd, -v200
	v_add_f16_e32 v173, v229, v180
	v_add_f16_e32 v180, v230, v217
	v_fmac_f16_e32 v232, 0xbbdd, v122
	v_add_f16_e32 v193, v225, v193
	v_fma_f16 v217, v164, 0x3722, -v238
	v_add_f16_e32 v200, v61, v200
	v_fma_f16 v206, v136, 0x3722, -v206
	v_add_f16_e32 v225, v37, v232
	v_fmac_f16_e32 v235, 0x3b76, v126
	v_add_f16_e32 v193, v217, v193
	v_fma_f16 v185, v166, 0xb461, -v185
	v_add_f16_e32 v200, v206, v200
	v_fma_f16 v206, v143, 0x2de8, -v209
	;; [unrolled: 6-line block ×3, first 2 shown]
	v_add_f16_e32 v209, v237, v209
	v_fmac_f16_e32 v236, 0x39e9, v139
	v_add_f16_e32 v185, v193, v185
	v_fmac_f16_e32 v233, 0xb8d2, v148
	v_add_f16_e32 v193, v206, v200
	v_fma_f16 v200, v158, 0x3b76, -v213
	v_add_f16_e32 v206, v236, v209
	v_fmac_f16_e32 v191, 0x3722, v154
	v_fmac_f16_e32 v192, 0xb461, v159
	v_fma_f16 v194, v129, 0xb8d2, -v194
	v_add_f16_e32 v193, v200, v193
	v_fma_f16 v200, v164, 0xbbdd, -v216
	v_add_f16_e32 v206, v233, v206
	v_fmac_f16_e32 v202, 0xb8d2, v122
	v_fmac_f16_e32 v205, 0xb461, v126
	;; [unrolled: 1-line block ×3, first 2 shown]
	v_add_f16_e32 v193, v200, v193
	v_fma_f16 v200, v166, 0x39e9, -v224
	v_add_f16_e32 v191, v191, v206
	v_add_f16_e32 v202, v37, v202
	v_fma_f16 v198, v158, 0x2de8, -v198
	v_fmac_f16_e32 v207, 0xbacd, v139
	v_add_f16_e32 v193, v200, v193
	v_fma_f16 v200, v165, 0xb461, -v203
	v_add_f16_e32 v191, v192, v191
	v_add_f16_e32 v202, v205, v202
	;; [unrolled: 1-line block ×6, first 2 shown]
	v_fma_f16 v194, v136, 0xb461, -v195
	v_add_f16_e32 v202, v204, v202
	v_fmac_f16_e32 v208, 0xbacd, v122
	v_mul_f16_e32 v205, 0x2de8, v126
	v_fmac_f16_e32 v210, 0x2de8, v148
	v_add_f16_e32 v193, v194, v193
	v_fma_f16 v194, v143, 0x3b76, -v196
	v_mul_f16_e32 v196, 0x39e9, v122
	v_add_f16_e32 v202, v207, v202
	v_add_f16_e32 v33, v33, v38
	;; [unrolled: 1-line block ×4, first 2 shown]
	v_fma_f16 v194, v153, 0xbacd, -v197
	v_add_f16_e32 v83, v196, v83
	v_add_f16_e32 v208, v37, v208
	v_fmac_f16_e32 v218, 0x3722, v126
	v_add_f16_e32 v202, v210, v202
	v_add_f16_e32 v193, v194, v193
	v_mul_f16_e32 v210, 0xb8d2, v134
	v_add_f16_e32 v83, v37, v83
	v_add_f16_e32 v87, v205, v87
	;; [unrolled: 1-line block ×4, first 2 shown]
	v_fma_f16 v198, v164, 0x39e9, -v199
	v_add_f16_e32 v34, v59, v38
	v_add_f16_e32 v208, v218, v208
	v_fmac_f16_e32 v219, 0x2de8, v134
	v_fma_f16 v211, v165, 0x3722, -v215
	v_add_f16_e32 v193, v198, v193
	v_fma_f16 v198, v166, 0xbbdd, -v201
	v_fmac_f16_e32 v212, 0x39e9, v154
	v_fma_f16 v153, v153, 0x3722, -v187
	v_mul_f16_e32 v187, 0xbbdd, v139
	v_add_f16_e32 v83, v87, v83
	v_add_f16_e32 v193, v198, v193
	v_add_f16_e32 v87, v210, v92
	v_add_f16_e32 v33, v47, v33
	v_add_f16_e32 v34, v75, v34
	v_add_f16_e32 v206, v219, v208
	v_fmac_f16_e32 v221, 0xb8d2, v139
	v_add_f16_e32 v193, v211, v193
	v_mul_f16_e32 v211, 0x3722, v134
	v_add_f16_e32 v202, v212, v202
	v_mul_f16_e32 v212, 0xbbdd, v134
	v_fmac_f16_e32 v214, 0xbbdd, v159
	v_fma_f16 v143, v143, 0x39e9, -v188
	v_mul_f16_e32 v188, 0xb461, v134
	v_fmac_f16_e32 v183, 0x39e9, v134
	v_mul_f16_e32 v134, 0xbacd, v148
	v_add_f16_e32 v83, v87, v83
	v_add_f16_e32 v87, v187, v99
	;; [unrolled: 1-line block ×4, first 2 shown]
	v_fma_f16 v129, v129, 0xb461, -v190
	v_add_f16_e32 v203, v221, v206
	v_fmac_f16_e32 v226, 0x3b76, v148
	v_mul_f16_e32 v209, 0x39e9, v126
	v_mul_f16_e32 v204, 0xb8d2, v126
	;; [unrolled: 1-line block ×3, first 2 shown]
	v_add_f16_e32 v202, v214, v202
	v_mul_f16_e32 v213, 0x2de8, v139
	v_mul_f16_e32 v214, 0xb461, v139
	v_fmac_f16_e32 v184, 0xbacd, v126
	v_mul_f16_e32 v126, 0x3b76, v139
	v_fma_f16 v158, v158, 0xbbdd, -v181
	v_mul_f16_e32 v181, 0xb461, v148
	v_fma_f16 v164, v164, 0x2de8, -v178
	v_mul_f16_e32 v178, 0x39e9, v148
	v_fmac_f16_e32 v179, 0x3722, v139
	v_mul_f16_e32 v139, 0x3722, v148
	v_fmac_f16_e32 v177, 0xbbdd, v148
	v_mul_f16_e32 v148, 0xb461, v154
	v_add_f16_e32 v83, v87, v83
	v_add_f16_e32 v87, v134, v98
	;; [unrolled: 1-line block ×5, first 2 shown]
	v_fma_f16 v136, v136, 0xbacd, -v189
	v_mul_f16_e32 v195, 0x3b76, v122
	v_add_f16_e32 v200, v226, v203
	v_mul_f16_e32 v203, 0xb5c8, v138
	v_mul_f16_e32 v206, 0xb964, v138
	;; [unrolled: 1-line block ×6, first 2 shown]
	v_fma_f16 v165, v165, 0xb8d2, -v172
	v_mul_f16_e32 v172, 0x3722, v159
	v_add_f16_e32 v63, v87, v83
	v_add_f16_e32 v64, v148, v106
	;; [unrolled: 1-line block ×5, first 2 shown]
	v_fmac_f16_e32 v186, 0xb461, v122
	v_mul_f16_e32 v199, 0xb964, v142
	v_sub_f16_e32 v114, v114, v138
	v_add_f16_e32 v101, v194, v101
	v_sub_f16_e32 v93, v93, v208
	v_add_f16_e32 v89, v197, v89
	;; [unrolled: 2-line block ×3, first 2 shown]
	v_add_f16_e32 v63, v172, v115
	v_sub_f16_e32 v64, v78, v203
	v_add_f16_e32 v48, v195, v77
	v_add_f16_e32 v33, v41, v33
	;; [unrolled: 1-line block ×3, first 2 shown]
	v_mul_f16_e32 v201, 0xbbf7, v142
	v_mul_f16_e32 v198, 0xba62, v142
	v_add_f16_e32 v129, v143, v129
	v_add_f16_e32 v186, v37, v186
	v_mul_f16_e32 v142, 0xb1e1, v142
	v_mul_f16_e32 v190, 0xbb29, v145
	v_add_f16_e32 v114, v61, v114
	v_add_f16_e32 v101, v37, v101
	;; [unrolled: 1-line block ×7, first 2 shown]
	v_sub_f16_e32 v63, v80, v199
	v_add_f16_e32 v37, v37, v48
	v_add_f16_e32 v39, v209, v79
	;; [unrolled: 1-line block ×4, first 2 shown]
	v_mul_f16_e32 v189, 0xba62, v145
	v_mul_f16_e32 v136, 0x31e1, v145
	v_add_f16_e32 v129, v153, v129
	v_add_f16_e32 v184, v184, v186
	v_sub_f16_e32 v103, v103, v198
	v_add_f16_e32 v97, v204, v97
	v_sub_f16_e32 v91, v91, v201
	v_mul_f16_e32 v145, 0x3bb2, v145
	v_sub_f16_e32 v121, v121, v142
	v_add_f16_e32 v109, v207, v109
	v_mul_f16_e32 v143, 0xbbf7, v147
	v_add_f16_e32 v48, v63, v61
	v_sub_f16_e32 v40, v82, v190
	v_add_f16_e32 v37, v39, v37
	v_add_f16_e32 v39, v211, v81
	;; [unrolled: 1-line block ×4, first 2 shown]
	v_mul_f16_e32 v122, 0xb1e1, v147
	v_mul_f16_e32 v153, 0x3bb2, v147
	v_add_f16_e32 v129, v158, v129
	v_add_f16_e32 v183, v183, v184
	;; [unrolled: 1-line block ×3, first 2 shown]
	v_sub_f16_e32 v103, v113, v136
	v_add_f16_e32 v89, v97, v89
	v_add_f16_e32 v97, v212, v104
	;; [unrolled: 1-line block ×3, first 2 shown]
	v_sub_f16_e32 v91, v94, v189
	v_mul_f16_e32 v147, 0x35c8, v147
	v_add_f16_e32 v114, v121, v114
	v_sub_f16_e32 v128, v128, v145
	v_add_f16_e32 v101, v109, v101
	v_add_f16_e32 v109, v188, v118
	v_mul_f16_e32 v186, 0xbbb2, v150
	v_add_f16_e32 v40, v40, v48
	v_sub_f16_e32 v41, v85, v143
	v_add_f16_e32 v37, v39, v37
	v_add_f16_e32 v39, v213, v84
	;; [unrolled: 1-line block ×4, first 2 shown]
	v_mul_f16_e32 v158, 0x3836, v150
	v_mul_f16_e32 v184, 0x3964, v150
	v_add_f16_e32 v129, v164, v129
	v_fma_f16 v166, v166, 0x3b76, -v175
	v_add_f16_e32 v179, v179, v183
	v_add_f16_e32 v93, v103, v93
	v_sub_f16_e32 v103, v120, v153
	v_add_f16_e32 v89, v97, v89
	v_add_f16_e32 v97, v214, v107
	;; [unrolled: 1-line block ×3, first 2 shown]
	v_sub_f16_e32 v91, v102, v122
	v_mul_f16_e32 v150, 0xbb29, v150
	v_add_f16_e32 v114, v128, v114
	v_sub_f16_e32 v132, v132, v147
	v_add_f16_e32 v101, v109, v101
	v_add_f16_e32 v109, v126, v123
	v_mul_f16_e32 v164, 0xb8d2, v154
	v_mul_f16_e32 v175, 0xba62, v156
	v_add_f16_e32 v40, v41, v40
	v_sub_f16_e32 v41, v90, v186
	v_add_f16_e32 v37, v39, v37
	v_add_f16_e32 v39, v181, v88
	;; [unrolled: 1-line block ×4, first 2 shown]
	v_mul_f16_e32 v183, 0x3bb2, v156
	v_add_f16_e32 v129, v166, v129
	v_mul_f16_e32 v166, 0x3b76, v154
	v_add_f16_e32 v177, v177, v179
	v_mul_f16_e32 v179, 0xb5c8, v156
	v_fmac_f16_e32 v182, 0x2de8, v154
	v_add_f16_e32 v93, v103, v93
	v_sub_f16_e32 v103, v127, v184
	v_add_f16_e32 v89, v97, v89
	v_add_f16_e32 v97, v178, v116
	;; [unrolled: 1-line block ×3, first 2 shown]
	v_sub_f16_e32 v91, v112, v158
	v_mul_f16_e32 v138, 0xbacd, v154
	v_mul_f16_e32 v156, 0xb836, v156
	v_add_f16_e32 v114, v132, v114
	v_sub_f16_e32 v132, v133, v150
	v_add_f16_e32 v101, v109, v101
	v_add_f16_e32 v109, v139, v130
	v_fmac_f16_e32 v223, 0xbbdd, v154
	v_mul_f16_e32 v154, 0xbacd, v159
	v_mul_f16_e32 v142, 0xb836, v161
	v_add_f16_e32 v40, v41, v40
	v_sub_f16_e32 v41, v96, v175
	v_add_f16_e32 v37, v39, v37
	v_add_f16_e32 v39, v164, v95
	v_add_f16_e32 v33, v36, v33
	v_add_f16_e32 v34, v73, v34
	v_add_f16_e32 v177, v182, v177
	v_mul_f16_e32 v182, 0x3b29, v161
	v_mul_f16_e32 v121, 0x2de8, v159
	;; [unrolled: 1-line block ×3, first 2 shown]
	v_fmac_f16_e32 v176, 0x3b76, v159
	v_add_f16_e32 v93, v103, v93
	v_sub_f16_e32 v103, v135, v179
	v_add_f16_e32 v89, v97, v89
	v_add_f16_e32 v94, v166, v124
	;; [unrolled: 1-line block ×3, first 2 shown]
	v_sub_f16_e32 v91, v119, v183
	v_fmac_f16_e32 v227, 0x39e9, v159
	v_mul_f16_e32 v159, 0xb8d2, v159
	v_mul_f16_e32 v161, 0x3a62, v161
	v_add_f16_e32 v114, v132, v114
	v_sub_f16_e32 v118, v144, v156
	v_add_f16_e32 v101, v109, v101
	v_add_f16_e32 v109, v138, v140
	;; [unrolled: 1-line block ×3, first 2 shown]
	v_mul_f16_e32 v165, 0xbbdd, v162
	v_mul_f16_e32 v194, 0xb1e1, v163
	v_add_f16_e32 v35, v41, v40
	v_sub_f16_e32 v40, v105, v142
	v_add_f16_e32 v37, v39, v37
	v_add_f16_e32 v36, v154, v100
	;; [unrolled: 1-line block ×5, first 2 shown]
	v_mul_f16_e32 v177, 0x3b76, v162
	v_mul_f16_e32 v128, 0x35c8, v163
	;; [unrolled: 1-line block ×4, first 2 shown]
	v_add_f16_e32 v93, v103, v93
	v_sub_f16_e32 v103, v141, v145
	v_add_f16_e32 v89, v94, v89
	v_add_f16_e32 v92, v121, v131
	;; [unrolled: 1-line block ×3, first 2 shown]
	v_sub_f16_e32 v91, v117, v182
	v_fmac_f16_e32 v222, 0xb461, v162
	v_fmac_f16_e32 v220, 0x3722, v162
	;; [unrolled: 1-line block ×4, first 2 shown]
	v_mul_f16_e32 v162, 0x39e9, v162
	v_mul_f16_e32 v163, 0x3964, v163
	v_add_f16_e32 v113, v118, v114
	v_sub_f16_e32 v114, v155, v161
	v_add_f16_e32 v101, v109, v101
	v_add_f16_e32 v109, v159, v146
	;; [unrolled: 1-line block ×4, first 2 shown]
	v_sub_f16_e32 v39, v110, v194
	v_add_f16_e32 v36, v36, v37
	v_add_f16_e32 v37, v165, v108
	;; [unrolled: 1-line block ×5, first 2 shown]
	v_sub_f16_e32 v103, v149, v207
	v_add_f16_e32 v89, v92, v89
	v_add_f16_e32 v92, v147, v137
	;; [unrolled: 1-line block ×3, first 2 shown]
	v_sub_f16_e32 v47, v125, v128
	v_add_f16_e32 v40, v177, v111
	v_add_f16_e32 v113, v114, v113
	v_sub_f16_e32 v114, v160, v163
	v_add_f16_e32 v101, v109, v101
	v_add_f16_e32 v109, v162, v157
	;; [unrolled: 1-line block ×5, first 2 shown]
	v_mov_b32_e32 v37, 2
	v_add_f16_e32 v33, v67, v33
	v_add_f16_e32 v34, v69, v34
	;; [unrolled: 1-line block ×11, first 2 shown]
	v_lshlrev_b32_sdwa v37, v37, v51 dst_sel:DWORD dst_unused:UNUSED_PAD src0_sel:DWORD src1_sel:WORD_0
	v_pack_b32_f16 v35, v36, v35
	v_pack_b32_f16 v33, v33, v34
	v_add_f16_e32 v42, v171, v191
	v_pack_b32_f16 v34, v83, v93
	v_pack_b32_f16 v36, v39, v38
	;; [unrolled: 1-line block ×6, first 2 shown]
	ds_write2_b32 v37, v33, v35 offset1:1
	ds_write2_b32 v37, v36, v34 offset0:2 offset1:3
	ds_write2_b32 v37, v38, v39 offset0:4 offset1:5
	;; [unrolled: 1-line block ×3, first 2 shown]
	v_pack_b32_f16 v33, v180, v173
	v_pack_b32_f16 v34, v42, v185
	;; [unrolled: 1-line block ×5, first 2 shown]
	v_perm_b32 v39, v57, v31, 0x5040100
	v_perm_b32 v40, v55, v29, 0x5040100
	v_perm_b32 v41, v58, v32, 0x5040100
	v_perm_b32 v42, v56, v30, 0x5040100
	ds_write2_b32 v37, v34, v33 offset0:8 offset1:9
	ds_write2_b32 v37, v36, v35 offset0:10 offset1:11
	;; [unrolled: 1-line block ×4, first 2 shown]
	ds_write_b32 v37, v42 offset:64
.LBB0_17:
	s_or_b32 exec_lo, exec_lo, s1
	s_waitcnt lgkmcnt(0)
	s_barrier
	buffer_gl0_inv
	v_add_nc_u32_e32 v33, 0x400, v49
	ds_read2_b32 v[35:36], v49 offset1:153
	v_add_nc_u32_e32 v34, 0x800, v49
	v_add_nc_u32_e32 v41, 0xe00, v49
	;; [unrolled: 1-line block ×3, first 2 shown]
	ds_read2_b32 v[37:38], v33 offset0:50 offset1:203
	v_add_nc_u32_e32 v33, 0x1700, v49
	ds_read2_b32 v[39:40], v34 offset0:100 offset1:253
	ds_read_b32 v47, v49 offset:7344
	ds_read2_b32 v[41:42], v41 offset0:22 offset1:175
	ds_read2_b32 v[43:44], v43 offset0:72 offset1:225
	ds_read2_b32 v[45:46], v33 offset0:58 offset1:211
	s_waitcnt lgkmcnt(0)
	s_barrier
	buffer_gl0_inv
	v_lshrrev_b32_e32 v34, 16, v36
	v_mul_f16_sdwa v51, v16, v36 dst_sel:DWORD dst_unused:UNUSED_PAD src0_sel:WORD_1 src1_sel:DWORD
	v_lshrrev_b32_e32 v59, 16, v37
	v_lshrrev_b32_e32 v60, 16, v38
	v_mul_f16_sdwa v69, v16, v34 dst_sel:DWORD dst_unused:UNUSED_PAD src0_sel:WORD_1 src1_sel:DWORD
	v_lshrrev_b32_e32 v61, 16, v39
	v_lshrrev_b32_e32 v62, 16, v40
	v_mul_f16_sdwa v70, v17, v37 dst_sel:DWORD dst_unused:UNUSED_PAD src0_sel:WORD_1 src1_sel:DWORD
	v_mul_f16_sdwa v71, v17, v59 dst_sel:DWORD dst_unused:UNUSED_PAD src0_sel:WORD_1 src1_sel:DWORD
	v_fma_f16 v51, v16, v34, -v51
	v_mul_f16_sdwa v72, v18, v60 dst_sel:DWORD dst_unused:UNUSED_PAD src0_sel:WORD_1 src1_sel:DWORD
	v_fmac_f16_e32 v69, v16, v36
	v_mul_f16_sdwa v16, v18, v38 dst_sel:DWORD dst_unused:UNUSED_PAD src0_sel:WORD_1 src1_sel:DWORD
	v_lshrrev_b32_e32 v63, 16, v41
	v_fma_f16 v36, v17, v59, -v70
	v_fmac_f16_e32 v71, v17, v37
	v_fmac_f16_e32 v72, v18, v38
	v_mul_f16_sdwa v37, v19, v61 dst_sel:DWORD dst_unused:UNUSED_PAD src0_sel:WORD_1 src1_sel:DWORD
	v_mul_f16_sdwa v17, v19, v39 dst_sel:DWORD dst_unused:UNUSED_PAD src0_sel:WORD_1 src1_sel:DWORD
	;; [unrolled: 1-line block ×3, first 2 shown]
	v_fma_f16 v38, v18, v60, -v16
	v_mul_f16_sdwa v18, v12, v40 dst_sel:DWORD dst_unused:UNUSED_PAD src0_sel:WORD_1 src1_sel:DWORD
	v_fmac_f16_e32 v37, v19, v39
	v_fma_f16 v39, v19, v61, -v17
	v_fmac_f16_e32 v34, v12, v40
	v_mul_f16_sdwa v16, v13, v63 dst_sel:DWORD dst_unused:UNUSED_PAD src0_sel:WORD_1 src1_sel:DWORD
	v_fma_f16 v19, v12, v62, -v18
	v_mul_f16_sdwa v12, v13, v41 dst_sel:DWORD dst_unused:UNUSED_PAD src0_sel:WORD_1 src1_sel:DWORD
	v_add_f16_sdwa v59, v35, v51 dst_sel:DWORD dst_unused:UNUSED_PAD src0_sel:WORD_1 src1_sel:DWORD
	v_lshrrev_b32_e32 v64, 16, v42
	v_add_f16_e32 v40, v35, v69
	v_fmac_f16_e32 v16, v13, v41
	v_fma_f16 v18, v13, v63, -v12
	v_add_f16_e32 v13, v59, v36
	v_lshrrev_b32_e32 v65, 16, v43
	v_mul_f16_sdwa v17, v14, v64 dst_sel:DWORD dst_unused:UNUSED_PAD src0_sel:WORD_1 src1_sel:DWORD
	v_add_f16_e32 v12, v40, v71
	v_mul_f16_sdwa v40, v14, v42 dst_sel:DWORD dst_unused:UNUSED_PAD src0_sel:WORD_1 src1_sel:DWORD
	v_add_f16_e32 v13, v13, v38
	v_lshrrev_b32_e32 v66, 16, v44
	v_fmac_f16_e32 v17, v14, v42
	v_mul_f16_sdwa v41, v15, v65 dst_sel:DWORD dst_unused:UNUSED_PAD src0_sel:WORD_1 src1_sel:DWORD
	v_add_f16_e32 v12, v12, v72
	v_fma_f16 v14, v14, v64, -v40
	v_mul_f16_sdwa v40, v15, v43 dst_sel:DWORD dst_unused:UNUSED_PAD src0_sel:WORD_1 src1_sel:DWORD
	v_add_f16_e32 v13, v13, v39
	v_lshrrev_b32_e32 v67, 16, v45
	v_fmac_f16_e32 v41, v15, v43
	v_add_f16_e32 v12, v12, v37
	v_mul_f16_sdwa v42, v8, v66 dst_sel:DWORD dst_unused:UNUSED_PAD src0_sel:WORD_1 src1_sel:DWORD
	v_fma_f16 v15, v15, v65, -v40
	v_mul_f16_sdwa v40, v8, v44 dst_sel:DWORD dst_unused:UNUSED_PAD src0_sel:WORD_1 src1_sel:DWORD
	v_add_f16_e32 v13, v13, v19
	v_add_f16_e32 v12, v12, v34
	v_fmac_f16_e32 v42, v8, v44
	v_mul_f16_sdwa v43, v9, v67 dst_sel:DWORD dst_unused:UNUSED_PAD src0_sel:WORD_1 src1_sel:DWORD
	v_fma_f16 v8, v8, v66, -v40
	v_add_f16_e32 v13, v13, v18
	v_mul_f16_sdwa v40, v9, v45 dst_sel:DWORD dst_unused:UNUSED_PAD src0_sel:WORD_1 src1_sel:DWORD
	v_lshrrev_b32_e32 v48, 16, v47
	v_lshrrev_b32_e32 v68, 16, v46
	v_add_f16_e32 v12, v12, v16
	v_fmac_f16_e32 v43, v9, v45
	v_add_f16_e32 v13, v13, v14
	v_fma_f16 v9, v9, v67, -v40
	v_mul_f16_sdwa v40, v11, v47 dst_sel:DWORD dst_unused:UNUSED_PAD src0_sel:WORD_1 src1_sel:DWORD
	v_mul_f16_sdwa v44, v10, v68 dst_sel:DWORD dst_unused:UNUSED_PAD src0_sel:WORD_1 src1_sel:DWORD
	v_add_f16_e32 v12, v12, v17
	v_add_f16_e32 v13, v13, v15
	v_mul_f16_sdwa v45, v11, v48 dst_sel:DWORD dst_unused:UNUSED_PAD src0_sel:WORD_1 src1_sel:DWORD
	v_fma_f16 v40, v11, v48, -v40
	v_fmac_f16_e32 v44, v10, v46
	v_add_f16_e32 v12, v12, v41
	v_mul_f16_sdwa v46, v10, v46 dst_sel:DWORD dst_unused:UNUSED_PAD src0_sel:WORD_1 src1_sel:DWORD
	v_add_f16_e32 v13, v13, v8
	v_fmac_f16_e32 v45, v11, v47
	v_sub_f16_e32 v11, v51, v40
	v_add_f16_e32 v12, v12, v42
	v_fma_f16 v10, v10, v68, -v46
	v_add_f16_e32 v13, v13, v9
	v_add_f16_e32 v46, v69, v45
	v_mul_f16_e32 v47, 0xb770, v11
	v_add_f16_e32 v12, v12, v43
	v_add_f16_e32 v48, v51, v40
	;; [unrolled: 1-line block ×3, first 2 shown]
	v_sub_f16_e32 v79, v36, v10
	v_fmamk_f16 v59, v46, 0x3b15, v47
	v_add_f16_e32 v12, v12, v44
	v_sub_f16_e32 v51, v69, v45
	v_mul_f16_e32 v60, 0x3b15, v48
	v_add_f16_e32 v13, v13, v40
	v_add_f16_e32 v40, v35, v59
	v_mul_f16_e32 v59, 0xba95, v11
	v_mul_f16_e32 v61, 0x388b, v48
	;; [unrolled: 1-line block ×10, first 2 shown]
	v_add_f16_e32 v81, v71, v44
	v_mul_f16_e32 v82, 0xba95, v79
	v_add_f16_e32 v10, v36, v10
	v_add_f16_e32 v12, v12, v45
	v_fmamk_f16 v45, v51, 0x3770, v60
	v_fma_f16 v47, v46, 0x3b15, -v47
	v_fmac_f16_e32 v60, 0xb770, v51
	v_fmamk_f16 v62, v46, 0x388b, v59
	v_fmamk_f16 v63, v51, 0x3a95, v61
	v_fma_f16 v59, v46, 0x388b, -v59
	v_fmac_f16_e32 v61, 0xba95, v51
	v_fmamk_f16 v65, v46, 0x2fb7, v64
	;; [unrolled: 4-line block ×5, first 2 shown]
	v_fmamk_f16 v80, v51, 0x33a8, v48
	v_fma_f16 v11, v46, 0xbbc4, -v11
	v_fmac_f16_e32 v48, 0xb3a8, v51
	v_sub_f16_e32 v36, v71, v44
	v_fmamk_f16 v44, v81, 0x388b, v82
	v_mul_f16_e32 v46, 0x388b, v10
	v_add_f16_sdwa v45, v35, v45 dst_sel:DWORD dst_unused:UNUSED_PAD src0_sel:WORD_1 src1_sel:DWORD
	v_add_f16_e32 v47, v35, v47
	v_add_f16_sdwa v60, v35, v60 dst_sel:DWORD dst_unused:UNUSED_PAD src0_sel:WORD_1 src1_sel:DWORD
	v_add_f16_e32 v62, v35, v62
	;; [unrolled: 2-line block ×12, first 2 shown]
	v_fmamk_f16 v44, v36, 0x3a95, v46
	v_mul_f16_e32 v48, 0xbb7b, v79
	v_fma_f16 v71, v81, 0x388b, -v82
	v_fmac_f16_e32 v46, 0xba95, v36
	v_mul_f16_e32 v80, 0xb5ac, v10
	v_add_f16_e32 v44, v44, v45
	v_fmamk_f16 v45, v81, 0xb5ac, v48
	v_add_f16_e32 v47, v71, v47
	v_add_f16_e32 v46, v46, v60
	v_fmamk_f16 v60, v36, 0x3b7b, v80
	v_mul_f16_e32 v71, 0xb3a8, v79
	v_fma_f16 v48, v81, 0xb5ac, -v48
	v_fmac_f16_e32 v80, 0xbb7b, v36
	v_add_f16_e32 v45, v45, v62
	v_add_f16_e32 v60, v60, v63
	v_fmamk_f16 v62, v81, 0xbbc4, v71
	v_mul_f16_e32 v63, 0xbbc4, v10
	v_add_f16_e32 v48, v48, v59
	v_add_f16_e32 v59, v80, v61
	v_mul_f16_e32 v61, 0x394e, v79
	v_add_f16_e32 v62, v62, v65
	v_fmamk_f16 v65, v36, 0x33a8, v63
	v_fmac_f16_e32 v63, 0xb3a8, v36
	v_mul_f16_e32 v82, 0xb9fd, v10
	v_fmamk_f16 v80, v81, 0xb9fd, v61
	v_fma_f16 v71, v81, 0xbbc4, -v71
	v_add_f16_e32 v65, v65, v68
	v_add_f16_e32 v63, v63, v66
	v_fmamk_f16 v68, v36, 0xb94e, v82
	v_add_f16_e32 v66, v80, v69
	v_mul_f16_e32 v69, 0x3bf1, v79
	v_add_f16_e32 v64, v71, v64
	v_fma_f16 v61, v81, 0xb9fd, -v61
	v_mul_f16_e32 v71, 0x2fb7, v10
	v_add_f16_e32 v68, v68, v73
	v_fmamk_f16 v73, v81, 0x2fb7, v69
	v_mul_f16_e32 v79, 0x3770, v79
	v_fma_f16 v69, v81, 0x2fb7, -v69
	v_add_f16_e32 v61, v61, v67
	v_fmamk_f16 v67, v36, 0xbbf1, v71
	v_add_f16_e32 v73, v73, v76
	v_fmac_f16_e32 v71, 0x3bf1, v36
	v_fmamk_f16 v76, v81, 0x3b15, v79
	v_add_f16_e32 v69, v69, v74
	v_sub_f16_e32 v74, v38, v9
	v_add_f16_e32 v67, v67, v77
	v_mul_f16_e32 v10, 0x3b15, v10
	v_add_f16_e32 v71, v71, v75
	v_add_f16_e32 v75, v76, v78
	;; [unrolled: 1-line block ×3, first 2 shown]
	v_mul_f16_e32 v78, 0xbbf1, v74
	v_add_f16_e32 v9, v38, v9
	v_fmac_f16_e32 v82, 0x394e, v36
	v_fmamk_f16 v76, v36, 0xb770, v10
	v_fma_f16 v38, v81, 0x3b15, -v79
	v_fmac_f16_e32 v10, 0x3770, v36
	v_sub_f16_e32 v36, v72, v43
	v_fmamk_f16 v43, v77, 0x2fb7, v78
	v_mul_f16_e32 v72, 0x2fb7, v9
	v_add_f16_e32 v51, v76, v51
	v_add_f16_e32 v11, v38, v11
	;; [unrolled: 1-line block ×4, first 2 shown]
	v_fmamk_f16 v38, v36, 0x3bf1, v72
	v_mul_f16_e32 v40, 0xb3a8, v74
	v_fma_f16 v43, v77, 0x2fb7, -v78
	v_fmac_f16_e32 v72, 0xbbf1, v36
	v_mul_f16_e32 v76, 0xbbc4, v9
	v_add_f16_e32 v38, v38, v44
	v_fmamk_f16 v44, v77, 0xbbc4, v40
	v_add_f16_e32 v43, v43, v47
	v_add_f16_e32 v46, v72, v46
	v_fmamk_f16 v47, v36, 0x33a8, v76
	v_mul_f16_e32 v72, 0x3b7b, v74
	v_fma_f16 v40, v77, 0xbbc4, -v40
	v_fmac_f16_e32 v76, 0xb3a8, v36
	v_add_f16_e32 v44, v44, v45
	v_add_f16_e32 v45, v47, v60
	v_fmamk_f16 v47, v77, 0xb5ac, v72
	v_mul_f16_e32 v60, 0xb5ac, v9
	v_add_f16_e32 v40, v40, v48
	v_add_f16_e32 v48, v76, v59
	v_mul_f16_e32 v59, 0x3770, v74
	v_add_f16_e32 v47, v47, v62
	v_fmamk_f16 v62, v36, 0xbb7b, v60
	v_fma_f16 v72, v77, 0xb5ac, -v72
	v_fmac_f16_e32 v60, 0x3b7b, v36
	v_fmamk_f16 v76, v77, 0x3b15, v59
	v_mul_f16_e32 v78, 0x3b15, v9
	v_add_f16_e32 v62, v62, v65
	v_add_f16_e32 v64, v72, v64
	;; [unrolled: 1-line block ×4, first 2 shown]
	v_fmamk_f16 v65, v36, 0xb770, v78
	v_mul_f16_e32 v66, 0xba95, v74
	v_fma_f16 v59, v77, 0x3b15, -v59
	v_mul_f16_e32 v72, 0x388b, v9
	v_mul_f16_e32 v74, 0xb94e, v74
	v_add_f16_e32 v65, v65, v68
	v_fmamk_f16 v68, v77, 0x388b, v66
	v_add_f16_e32 v59, v59, v61
	v_fmamk_f16 v61, v36, 0x3a95, v72
	v_fma_f16 v66, v77, 0x388b, -v66
	v_fmac_f16_e32 v72, 0xba95, v36
	v_add_f16_e32 v68, v68, v73
	v_mul_f16_e32 v9, 0xb9fd, v9
	v_add_f16_e32 v61, v61, v67
	v_fmamk_f16 v67, v77, 0xb9fd, v74
	v_add_f16_e32 v66, v66, v69
	v_sub_f16_e32 v69, v39, v8
	v_add_f16_e32 v73, v37, v42
	v_add_f16_e32 v8, v39, v8
	v_add_f16_e32 v67, v67, v75
	v_fmac_f16_e32 v78, 0x3770, v36
	v_mul_f16_e32 v75, 0xbb7b, v69
	v_add_f16_e32 v71, v72, v71
	v_fmamk_f16 v72, v36, 0x394e, v9
	v_fma_f16 v39, v77, 0xb9fd, -v74
	v_fmac_f16_e32 v9, 0xb94e, v36
	v_sub_f16_e32 v36, v37, v42
	v_fmamk_f16 v37, v73, 0xb5ac, v75
	v_mul_f16_e32 v42, 0xb5ac, v8
	v_add_f16_e32 v51, v72, v51
	v_add_f16_e32 v11, v39, v11
	;; [unrolled: 1-line block ×4, first 2 shown]
	v_fmamk_f16 v35, v36, 0x3b7b, v42
	v_mul_f16_e32 v37, 0x394e, v69
	v_fma_f16 v39, v73, 0xb5ac, -v75
	v_fmac_f16_e32 v42, 0xbb7b, v36
	v_mul_f16_e32 v72, 0xb9fd, v8
	v_add_f16_e32 v35, v35, v38
	v_fmamk_f16 v38, v73, 0xb9fd, v37
	v_add_f16_e32 v39, v39, v43
	v_add_f16_e32 v42, v42, v46
	v_fmamk_f16 v43, v36, 0xb94e, v72
	v_mul_f16_e32 v46, 0x3770, v69
	v_fma_f16 v37, v73, 0xb9fd, -v37
	v_fmac_f16_e32 v72, 0x394e, v36
	v_add_f16_e32 v38, v38, v44
	v_add_f16_e32 v43, v43, v45
	v_fmamk_f16 v44, v73, 0x3b15, v46
	v_mul_f16_e32 v45, 0x3b15, v8
	v_add_f16_e32 v37, v37, v40
	v_add_f16_e32 v40, v72, v48
	v_mul_f16_e32 v48, 0xbbf1, v69
	v_add_f16_e32 v44, v44, v47
	v_fmamk_f16 v47, v36, 0xb770, v45
	v_fmac_f16_e32 v45, 0x3770, v36
	v_mul_f16_e32 v74, 0x2fb7, v8
	v_fmamk_f16 v72, v73, 0x2fb7, v48
	v_fma_f16 v46, v73, 0x3b15, -v46
	v_add_f16_e32 v47, v47, v62
	v_add_f16_e32 v45, v45, v60
	v_fmamk_f16 v62, v36, 0x3bf1, v74
	v_add_f16_e32 v60, v72, v63
	v_mul_f16_e32 v63, 0x33a8, v69
	v_add_f16_e32 v46, v46, v64
	v_fma_f16 v48, v73, 0x2fb7, -v48
	v_mul_f16_e32 v64, 0xbbc4, v8
	v_add_f16_e32 v62, v62, v65
	v_fmamk_f16 v65, v73, 0xbbc4, v63
	v_fma_f16 v63, v73, 0xbbc4, -v63
	v_add_f16_e32 v48, v48, v59
	v_fmamk_f16 v59, v36, 0xb3a8, v64
	v_mul_f16_e32 v69, 0x3a95, v69
	v_fmac_f16_e32 v64, 0x33a8, v36
	v_add_f16_e32 v63, v63, v66
	v_sub_f16_e32 v66, v19, v15
	v_add_f16_e32 v65, v65, v68
	v_add_f16_e32 v59, v59, v61
	v_fmamk_f16 v61, v73, 0x388b, v69
	v_mul_f16_e32 v8, 0x388b, v8
	v_add_f16_e32 v64, v64, v71
	v_add_f16_e32 v68, v34, v41
	v_mul_f16_e32 v71, 0xb94e, v66
	v_add_f16_e32 v15, v19, v15
	v_fmac_f16_e32 v74, 0xbbf1, v36
	v_add_f16_e32 v61, v61, v67
	v_fmamk_f16 v67, v36, 0xba95, v8
	v_fma_f16 v19, v73, 0x388b, -v69
	v_fmac_f16_e32 v8, 0x3a95, v36
	v_sub_f16_e32 v34, v34, v41
	v_fmamk_f16 v36, v68, 0xb9fd, v71
	v_mul_f16_e32 v41, 0xb9fd, v15
	v_add_f16_e32 v51, v67, v51
	v_add_f16_e32 v11, v19, v11
	;; [unrolled: 1-line block ×4, first 2 shown]
	v_fmamk_f16 v10, v34, 0x394e, v41
	v_mul_f16_e32 v19, 0x3bf1, v66
	v_fma_f16 v36, v68, 0xb9fd, -v71
	v_fmac_f16_e32 v41, 0xb94e, v34
	v_mul_f16_e32 v67, 0x2fb7, v15
	v_add_f16_e32 v10, v10, v35
	v_fmamk_f16 v35, v68, 0x2fb7, v19
	v_add_f16_e32 v36, v36, v39
	v_add_f16_e32 v39, v41, v42
	v_fmamk_f16 v41, v34, 0xbbf1, v67
	v_mul_f16_e32 v42, 0xba95, v66
	v_add_f16_e32 v38, v35, v38
	v_fma_f16 v19, v68, 0x2fb7, -v19
	v_fmac_f16_e32 v67, 0x3bf1, v34
	v_add_f16_e32 v41, v41, v43
	v_fmamk_f16 v35, v68, 0x388b, v42
	v_mul_f16_e32 v43, 0x388b, v15
	v_add_f16_e32 v19, v19, v37
	v_add_f16_e32 v37, v67, v40
	v_mul_f16_e32 v40, 0x33a8, v66
	v_add_f16_e32 v44, v35, v44
	v_fmamk_f16 v35, v34, 0x3a95, v43
	v_fma_f16 v42, v68, 0x388b, -v42
	v_mul_f16_e32 v69, 0xbbc4, v15
	v_fmac_f16_e32 v43, 0xba95, v34
	v_fmamk_f16 v67, v68, 0xbbc4, v40
	v_add_f16_e32 v47, v35, v47
	v_add_f16_e32 v42, v42, v46
	v_fmamk_f16 v35, v34, 0xb3a8, v69
	v_mul_f16_e32 v46, 0x3770, v66
	v_add_f16_e32 v43, v43, v45
	v_add_f16_e32 v45, v67, v60
	v_fma_f16 v40, v68, 0xbbc4, -v40
	v_mul_f16_e32 v60, 0x3b15, v15
	v_add_f16_e32 v62, v35, v62
	v_fmamk_f16 v35, v68, 0x3b15, v46
	v_mul_f16_e32 v66, 0xbb7b, v66
	v_add_f16_e32 v40, v40, v48
	v_fmamk_f16 v48, v34, 0xb770, v60
	v_fmac_f16_e32 v60, 0x3770, v34
	v_add_f16_e32 v65, v35, v65
	v_fma_f16 v35, v68, 0x3b15, -v46
	v_mul_f16_e32 v15, 0xb5ac, v15
	v_add_f16_e32 v46, v48, v59
	v_fmamk_f16 v48, v68, 0xb5ac, v66
	v_add_f16_e32 v60, v60, v64
	v_add_f16_e32 v59, v35, v63
	v_sub_f16_e32 v63, v18, v14
	v_add_f16_e32 v14, v18, v14
	v_add_f16_e32 v48, v48, v61
	;; [unrolled: 1-line block ×3, first 2 shown]
	v_fmac_f16_e32 v69, 0x33a8, v34
	v_mul_f16_e32 v64, 0xb3a8, v63
	v_fmamk_f16 v35, v34, 0x3b7b, v15
	v_fmac_f16_e32 v15, 0xbb7b, v34
	v_sub_f16_e32 v16, v16, v17
	v_mul_f16_e32 v34, 0xbbc4, v14
	v_fmamk_f16 v17, v61, 0xbbc4, v64
	v_fma_f16 v18, v68, 0xb5ac, -v66
	v_add_f16_e32 v15, v15, v8
	v_add_f16_e32 v51, v35, v51
	v_fmamk_f16 v8, v16, 0x33a8, v34
	v_add_f16_e32 v17, v17, v9
	v_mul_f16_e32 v9, 0x3770, v63
	v_fmac_f16_e32 v34, 0xb3a8, v16
	v_add_f16_e32 v18, v18, v11
	v_fma_f16 v11, v61, 0xbbc4, -v64
	v_mul_f16_e32 v64, 0x3b15, v14
	v_add_f16_e32 v66, v8, v10
	v_fmamk_f16 v8, v61, 0x3b15, v9
	v_add_f16_e32 v35, v34, v39
	v_mul_f16_e32 v34, 0xb94e, v63
	v_add_f16_e32 v70, v82, v70
	v_add_f16_e32 v11, v11, v36
	v_fmamk_f16 v10, v16, 0xb770, v64
	v_add_f16_e32 v38, v8, v38
	v_fma_f16 v8, v61, 0x3b15, -v9
	v_fmamk_f16 v9, v61, 0xb9fd, v34
	v_mul_f16_e32 v36, 0xb9fd, v14
	v_add_f16_e32 v70, v78, v70
	v_add_f16_e32 v39, v10, v41
	;; [unrolled: 1-line block ×3, first 2 shown]
	v_mul_f16_e32 v8, 0x3a95, v63
	v_add_f16_e32 v19, v9, v44
	v_fmamk_f16 v9, v16, 0x394e, v36
	v_fma_f16 v34, v61, 0xb9fd, -v34
	v_mul_f16_e32 v44, 0x388b, v14
	v_add_f16_e32 v70, v74, v70
	v_fmac_f16_e32 v36, 0xb94e, v16
	v_fmamk_f16 v41, v61, 0x388b, v8
	v_add_f16_e32 v47, v9, v47
	v_add_f16_e32 v9, v34, v42
	v_fmamk_f16 v34, v16, 0xba95, v44
	v_mul_f16_e32 v42, 0xbb7b, v63
	v_add_f16_e32 v67, v69, v70
	v_add_f16_e32 v36, v36, v43
	;; [unrolled: 1-line block ×3, first 2 shown]
	v_fma_f16 v8, v61, 0x388b, -v8
	v_fmac_f16_e32 v44, 0x3a95, v16
	v_mul_f16_e32 v43, 0xb5ac, v14
	v_add_f16_e32 v45, v34, v62
	v_fmamk_f16 v62, v61, 0xb5ac, v42
	v_add_f16_e32 v8, v8, v40
	v_add_f16_e32 v34, v44, v67
	v_fmamk_f16 v40, v16, 0x3b7b, v43
	v_fma_f16 v42, v61, 0xb5ac, -v42
	v_add_f16_e32 v44, v62, v65
	v_mul_f16_e32 v62, 0x3bf1, v63
	v_mul_f16_e32 v14, 0x2fb7, v14
	v_add_f16_e32 v40, v40, v46
	v_add_f16_e32 v42, v42, v59
	v_fmac_f16_e32 v43, 0xbb7b, v16
	v_fmamk_f16 v46, v61, 0x2fb7, v62
	v_fmamk_f16 v59, v16, 0xbbf1, v14
	v_fma_f16 v61, v61, 0x2fb7, -v62
	v_fmac_f16_e32 v14, 0x3bf1, v16
	v_fmac_f16_e32 v64, 0x3770, v16
	v_pack_b32_f16 v12, v12, v13
	v_pack_b32_f16 v13, v17, v66
	v_add_f16_e32 v16, v43, v60
	v_add_f16_e32 v43, v46, v48
	;; [unrolled: 1-line block ×5, first 2 shown]
	v_pack_b32_f16 v15, v38, v39
	v_pack_b32_f16 v17, v19, v47
	v_add_f16_e32 v37, v64, v37
	ds_write2_b32 v52, v12, v13 offset1:17
	ds_write2_b32 v52, v15, v17 offset0:34 offset1:51
	v_pack_b32_f16 v12, v41, v45
	v_pack_b32_f16 v13, v44, v40
	;; [unrolled: 1-line block ×9, first 2 shown]
	ds_write2_b32 v52, v12, v13 offset0:68 offset1:85
	ds_write2_b32 v52, v15, v14 offset0:102 offset1:119
	;; [unrolled: 1-line block ×4, first 2 shown]
	ds_write_b32 v52, v38 offset:816
	v_add_nc_u32_e32 v38, 0x680, v49
	v_add_nc_u32_e32 v39, 0xd80, v49
	;; [unrolled: 1-line block ×3, first 2 shown]
	s_waitcnt lgkmcnt(0)
	s_barrier
	buffer_gl0_inv
	ds_read2_b32 v[12:13], v49 offset1:221
	ds_read2_b32 v[18:19], v38 offset0:26 offset1:247
	ds_read2_b32 v[16:17], v39 offset0:20 offset1:241
	;; [unrolled: 1-line block ×3, first 2 shown]
	ds_read_b32 v41, v49 offset:7072
	s_and_saveexec_b32 s1, s0
	s_cbranch_execz .LBB0_19
; %bb.18:
	v_add_nc_u32_e32 v8, 0x200, v49
	v_add_nc_u32_e32 v10, 0x900, v49
	;; [unrolled: 1-line block ×3, first 2 shown]
	ds_read2_b32 v[29:30], v33 offset0:7 offset1:228
	ds_read2_b32 v[8:9], v8 offset0:25 offset1:246
	ds_read2_b32 v[10:11], v10 offset0:19 offset1:240
	ds_read2_b32 v[31:32], v31 offset0:13 offset1:234
	ds_read_b32 v53, v49 offset:7684
	s_waitcnt lgkmcnt(3)
	v_lshrrev_b32_e32 v34, 16, v8
	v_lshrrev_b32_e32 v55, 16, v29
	v_lshrrev_b32_e32 v56, 16, v30
	v_lshrrev_b32_e32 v36, 16, v9
	s_waitcnt lgkmcnt(2)
	v_lshrrev_b32_e32 v37, 16, v10
	v_lshrrev_b32_e32 v35, 16, v11
	s_waitcnt lgkmcnt(1)
	v_lshrrev_b32_e32 v57, 16, v31
	v_lshrrev_b32_e32 v58, 16, v32
	s_waitcnt lgkmcnt(0)
	v_lshrrev_b32_e32 v54, 16, v53
.LBB0_19:
	s_or_b32 exec_lo, exec_lo, s1
	s_waitcnt lgkmcnt(4)
	v_lshrrev_b32_e32 v33, 16, v13
	s_waitcnt lgkmcnt(3)
	v_lshrrev_b32_e32 v43, 16, v18
	v_lshrrev_b32_e32 v44, 16, v19
	s_waitcnt lgkmcnt(2)
	v_lshrrev_b32_e32 v45, 16, v16
	v_lshrrev_b32_e32 v47, 16, v17
	v_mul_f16_sdwa v46, v24, v33 dst_sel:DWORD dst_unused:UNUSED_PAD src0_sel:WORD_1 src1_sel:DWORD
	v_mul_f16_sdwa v59, v25, v43 dst_sel:DWORD dst_unused:UNUSED_PAD src0_sel:WORD_1 src1_sel:DWORD
	;; [unrolled: 1-line block ×5, first 2 shown]
	v_fmac_f16_e32 v46, v24, v13
	v_mul_f16_sdwa v13, v24, v13 dst_sel:DWORD dst_unused:UNUSED_PAD src0_sel:WORD_1 src1_sel:DWORD
	s_waitcnt lgkmcnt(1)
	v_lshrrev_b32_e32 v48, 16, v14
	v_lshrrev_b32_e32 v51, 16, v15
	s_waitcnt lgkmcnt(0)
	v_lshrrev_b32_e32 v52, 16, v41
	v_fmac_f16_e32 v59, v25, v18
	v_fma_f16 v13, v24, v33, -v13
	v_fma_f16 v18, v25, v43, -v60
	v_fmac_f16_e32 v61, v26, v19
	v_fma_f16 v19, v26, v44, -v62
	v_mul_f16_sdwa v24, v27, v45 dst_sel:DWORD dst_unused:UNUSED_PAD src0_sel:WORD_1 src1_sel:DWORD
	v_mul_f16_sdwa v25, v27, v16 dst_sel:DWORD dst_unused:UNUSED_PAD src0_sel:WORD_1 src1_sel:DWORD
	;; [unrolled: 1-line block ×5, first 2 shown]
	v_fmac_f16_e32 v24, v27, v16
	v_fma_f16 v16, v27, v45, -v25
	v_fmac_f16_e32 v26, v20, v17
	v_fma_f16 v17, v20, v47, -v33
	v_mul_f16_sdwa v20, v23, v52 dst_sel:DWORD dst_unused:UNUSED_PAD src0_sel:WORD_1 src1_sel:DWORD
	v_mul_f16_sdwa v25, v23, v41 dst_sel:DWORD dst_unused:UNUSED_PAD src0_sel:WORD_1 src1_sel:DWORD
	;; [unrolled: 1-line block ×4, first 2 shown]
	v_fmac_f16_e32 v43, v21, v14
	v_mul_f16_sdwa v14, v21, v14 dst_sel:DWORD dst_unused:UNUSED_PAD src0_sel:WORD_1 src1_sel:DWORD
	v_fmac_f16_e32 v20, v23, v41
	v_fma_f16 v23, v23, v52, -v25
	v_fmac_f16_e32 v27, v22, v15
	v_fma_f16 v15, v22, v51, -v33
	v_fma_f16 v14, v21, v48, -v14
	v_add_f16_e32 v21, v46, v20
	v_add_f16_e32 v22, v13, v23
	;; [unrolled: 1-line block ×4, first 2 shown]
	v_sub_f16_e32 v20, v46, v20
	v_add_f16_e32 v41, v61, v43
	v_add_f16_e32 v44, v19, v14
	;; [unrolled: 1-line block ×4, first 2 shown]
	v_sub_f16_e32 v13, v13, v23
	v_sub_f16_e32 v23, v59, v27
	v_mul_f16_e32 v27, 0x3924, v20
	v_sub_f16_e32 v46, v24, v26
	v_sub_f16_e32 v47, v16, v17
	v_add_f16_e32 v66, v41, v62
	v_add_f16_e32 v67, v44, v63
	v_sub_f16_e32 v43, v61, v43
	v_fmac_f16_e32 v27, 0x3be1, v23
	v_add_f16_e32 v48, v24, v26
	v_add_f16_e32 v51, v16, v17
	v_mul_f16_e32 v52, 0xb924, v47
	v_mul_f16_e32 v60, 0xb924, v46
	v_add_f16_e32 v24, v24, v66
	v_add_f16_e32 v16, v16, v67
	v_lshrrev_b32_e32 v42, 16, v12
	v_sub_f16_e32 v14, v19, v14
	v_fmac_f16_e32 v27, 0x3aee, v43
	v_fmac_f16_e32 v52, 0x3be1, v13
	;; [unrolled: 1-line block ×3, first 2 shown]
	v_add_f16_e32 v24, v26, v24
	v_add_f16_e32 v16, v17, v16
	v_fmamk_f16 v59, v48, 0x3a21, v12
	v_sub_f16_e32 v15, v18, v15
	v_mul_f16_e32 v18, 0x3924, v13
	v_fmamk_f16 v19, v21, 0x3a21, v12
	v_fmamk_f16 v45, v22, 0x3a21, v42
	v_fmac_f16_e32 v27, 0x3579, v46
	v_fmamk_f16 v61, v51, 0x3a21, v42
	v_fmac_f16_e32 v52, 0xbaee, v14
	v_fmac_f16_e32 v60, 0xbaee, v43
	v_add_f16_e32 v64, v46, v20
	v_add_f16_e32 v65, v47, v13
	v_add_f16_e32 v67, v41, v12
	v_add_f16_e32 v68, v44, v42
	v_mul_f16_e32 v26, 0x3be1, v46
	v_mul_f16_e32 v46, 0x3be1, v47
	v_add_f16_e32 v24, v24, v12
	v_add_f16_e32 v16, v16, v42
	v_fmac_f16_e32 v12, 0x3a21, v25
	v_fmac_f16_e32 v42, 0x3a21, v33
	;; [unrolled: 1-line block ×6, first 2 shown]
	v_sub_f16_e32 v64, v64, v23
	v_sub_f16_e32 v65, v65, v15
	v_fma_f16 v23, v23, 0xb924, -v26
	v_fma_f16 v15, v15, 0xb924, -v46
	v_fmac_f16_e32 v12, 0x318f, v48
	v_fmac_f16_e32 v42, 0x318f, v51
	;; [unrolled: 1-line block ×3, first 2 shown]
	v_fmac_f16_e32 v59, -0.5, v41
	v_fmac_f16_e32 v19, 0x318f, v25
	v_fmac_f16_e32 v45, 0x318f, v33
	;; [unrolled: 1-line block ×4, first 2 shown]
	v_fmac_f16_e32 v12, -0.5, v41
	v_fmac_f16_e32 v42, -0.5, v44
	;; [unrolled: 1-line block ×3, first 2 shown]
	v_fmac_f16_e32 v59, 0xbb84, v25
	v_add_f16_e32 v17, v48, v62
	v_add_f16_e32 v25, v51, v63
	v_fmac_f16_e32 v18, 0x3aee, v14
	v_fmac_f16_e32 v19, -0.5, v41
	v_fmac_f16_e32 v45, -0.5, v44
	v_fmac_f16_e32 v23, 0x3579, v20
	v_fmac_f16_e32 v15, 0x3579, v13
	;; [unrolled: 1-line block ×5, first 2 shown]
	v_fmac_f16_e32 v67, -0.5, v17
	v_fmac_f16_e32 v68, -0.5, v25
	v_fmac_f16_e32 v18, 0x3579, v47
	v_fmac_f16_e32 v19, 0xbb84, v48
	;; [unrolled: 1-line block ×3, first 2 shown]
	v_sub_f16_e32 v12, v12, v15
	v_add_f16_e32 v14, v23, v42
	v_sub_f16_e32 v59, v59, v52
	v_add_f16_e32 v61, v60, v61
	v_mul_f16_e32 v66, 0x3aee, v64
	v_mul_f16_e32 v13, 0x3aee, v65
	v_fmac_f16_e32 v67, 0xbaee, v65
	v_fmac_f16_e32 v68, 0x3aee, v64
	v_sub_f16_e32 v19, v19, v18
	v_add_f16_e32 v45, v27, v45
	v_fma_f16 v15, 2.0, v15, v12
	v_fma_f16 v21, -2.0, v23, v14
	v_fma_f16 v52, 2.0, v52, v59
	v_fma_f16 v17, -2.0, v60, v61
	;; [unrolled: 2-line block ×4, first 2 shown]
	v_pack_b32_f16 v16, v24, v16
	v_pack_b32_f16 v19, v19, v45
	;; [unrolled: 1-line block ×9, first 2 shown]
	ds_write2_b32 v49, v16, v19 offset1:221
	ds_write2_b32 v38, v22, v23 offset0:26 offset1:247
	ds_write2_b32 v39, v12, v14 offset0:20 offset1:241
	;; [unrolled: 1-line block ×3, first 2 shown]
	ds_write_b32 v49, v17 offset:7072
	s_and_saveexec_b32 s1, s0
	s_cbranch_execz .LBB0_21
; %bb.20:
	v_mul_f16_sdwa v16, v1, v10 dst_sel:DWORD dst_unused:UNUSED_PAD src0_sel:WORD_1 src1_sel:DWORD
	v_mul_f16_sdwa v18, v6, v30 dst_sel:DWORD dst_unused:UNUSED_PAD src0_sel:WORD_1 src1_sel:DWORD
	;; [unrolled: 1-line block ×5, first 2 shown]
	v_fma_f16 v16, v1, v37, -v16
	v_mul_f16_sdwa v20, v4, v32 dst_sel:DWORD dst_unused:UNUSED_PAD src0_sel:WORD_1 src1_sel:DWORD
	v_fma_f16 v18, v6, v56, -v18
	v_fmac_f16_e32 v21, v6, v30
	v_fmac_f16_e32 v22, v1, v10
	v_mul_f16_sdwa v1, v4, v58 dst_sel:DWORD dst_unused:UNUSED_PAD src0_sel:WORD_1 src1_sel:DWORD
	v_mul_f16_sdwa v6, v3, v57 dst_sel:DWORD dst_unused:UNUSED_PAD src0_sel:WORD_1 src1_sel:DWORD
	;; [unrolled: 1-line block ×4, first 2 shown]
	v_fma_f16 v19, v3, v57, -v19
	v_fma_f16 v20, v4, v58, -v20
	v_fmac_f16_e32 v1, v4, v32
	v_fmac_f16_e32 v6, v3, v31
	v_mul_f16_sdwa v3, v5, v55 dst_sel:DWORD dst_unused:UNUSED_PAD src0_sel:WORD_1 src1_sel:DWORD
	v_mul_f16_sdwa v4, v2, v35 dst_sel:DWORD dst_unused:UNUSED_PAD src0_sel:WORD_1 src1_sel:DWORD
	;; [unrolled: 1-line block ×4, first 2 shown]
	v_fma_f16 v12, v2, v35, -v12
	v_fma_f16 v13, v5, v55, -v13
	v_fmac_f16_e32 v3, v5, v29
	v_fmac_f16_e32 v4, v2, v11
	v_mul_f16_sdwa v2, v7, v54 dst_sel:DWORD dst_unused:UNUSED_PAD src0_sel:WORD_1 src1_sel:DWORD
	v_mul_f16_sdwa v5, v0, v36 dst_sel:DWORD dst_unused:UNUSED_PAD src0_sel:WORD_1 src1_sel:DWORD
	v_fma_f16 v14, v0, v36, -v14
	v_fma_f16 v15, v7, v54, -v15
	v_sub_f16_e32 v23, v19, v20
	v_fmac_f16_e32 v2, v7, v53
	v_fmac_f16_e32 v5, v0, v9
	v_sub_f16_e32 v10, v16, v18
	v_add_f16_e32 v24, v21, v22
	v_mul_f16_e32 v25, 0x3be1, v23
	v_sub_f16_e32 v0, v14, v15
	v_add_f16_e32 v7, v2, v5
	v_sub_f16_e32 v9, v6, v1
	v_add_f16_e32 v16, v18, v16
	v_add_f16_e32 v14, v15, v14
	v_sub_f16_e32 v17, v12, v13
	v_fma_f16 v11, v10, 0xb924, -v25
	v_add_f16_e32 v25, v3, v4
	v_sub_f16_e32 v18, v22, v21
	v_mul_f16_e32 v21, 0x3be1, v9
	v_add_f16_e32 v12, v13, v12
	v_add_f16_e32 v13, v16, v14
	v_add_f16_e32 v15, v24, v7
	v_add_f16_e32 v27, v1, v6
	v_sub_f16_e32 v3, v4, v3
	v_fma_f16 v4, v18, 0xb924, -v21
	v_sub_f16_e32 v2, v5, v2
	v_add_f16_e32 v5, v12, v13
	v_add_f16_e32 v21, v25, v15
	;; [unrolled: 1-line block ×10, first 2 shown]
	v_fmac_f16_e32 v11, 0x3aee, v17
	v_fmac_f16_e32 v4, 0x3aee, v3
	v_add_f16_e32 v5, v20, v5
	v_add_f16_e32 v1, v1, v6
	v_sub_f16_e32 v6, v21, v10
	v_fmac_f16_e32 v19, -0.5, v15
	v_mul_f16_e32 v20, 0xb924, v23
	v_mul_f16_e32 v30, 0xb924, v9
	v_fmamk_f16 v26, v24, 0x3a21, v8
	v_fmamk_f16 v22, v16, 0x3a21, v34
	;; [unrolled: 1-line block ×3, first 2 shown]
	v_fmac_f16_e32 v31, -0.5, v13
	v_fmamk_f16 v13, v29, 0x3a21, v34
	v_fmac_f16_e32 v11, 0x3579, v0
	v_fmac_f16_e32 v4, 0x3579, v2
	v_add_f16_e32 v5, v34, v5
	v_add_f16_e32 v1, v8, v1
	v_mul_f16_e32 v15, 0x3aee, v6
	v_fmac_f16_e32 v19, 0xbaee, v6
	v_add_f16_e32 v6, v9, v2
	v_fmac_f16_e32 v20, 0x3be1, v0
	v_fmac_f16_e32 v30, 0x3be1, v2
	v_fmac_f16_e32 v8, 0x3a21, v7
	v_mul_f16_e32 v0, 0x3924, v0
	v_mul_f16_e32 v2, 0x3924, v2
	v_fmac_f16_e32 v34, 0x3a21, v14
	v_fmac_f16_e32 v26, 0x318f, v27
	;; [unrolled: 1-line block ×9, first 2 shown]
	v_fmac_f16_e32 v26, -0.5, v25
	v_fmac_f16_e32 v22, -0.5, v12
	v_fmac_f16_e32 v20, 0xbaee, v17
	v_fmac_f16_e32 v21, -0.5, v25
	v_fmac_f16_e32 v30, 0xbaee, v3
	v_fmac_f16_e32 v13, -0.5, v12
	v_fmac_f16_e32 v8, -0.5, v25
	v_fmac_f16_e32 v0, 0x3aee, v17
	v_fmac_f16_e32 v2, 0x3aee, v3
	v_fmac_f16_e32 v34, -0.5, v12
	v_fmac_f16_e32 v26, 0xbb84, v7
	v_fmac_f16_e32 v22, 0xbb84, v14
	v_sub_f16_e32 v6, v6, v18
	v_fmac_f16_e32 v20, 0x3579, v10
	v_fmac_f16_e32 v21, 0xbb84, v24
	v_fmac_f16_e32 v30, 0x3579, v18
	v_fmac_f16_e32 v13, 0xbb84, v16
	v_fmac_f16_e32 v8, 0xbb84, v27
	v_fmac_f16_e32 v0, 0x3579, v23
	v_fmac_f16_e32 v2, 0x3579, v9
	v_fmac_f16_e32 v34, 0xbb84, v29
	v_sub_f16_e32 v26, v26, v11
	v_add_f16_e32 v22, v4, v22
	v_mul_f16_e32 v32, 0x3aee, v6
	v_fmac_f16_e32 v31, 0x3aee, v6
	v_sub_f16_e32 v3, v21, v20
	v_add_f16_e32 v6, v30, v13
	v_sub_f16_e32 v7, v8, v0
	v_add_f16_e32 v8, v2, v34
	v_fma_f16 v11, 2.0, v11, v26
	v_fma_f16 v4, -2.0, v4, v22
	v_fma_f16 v15, 2.0, v15, v19
	v_fma_f16 v9, -2.0, v32, v31
	;; [unrolled: 2-line block ×4, first 2 shown]
	v_pack_b32_f16 v1, v1, v5
	v_pack_b32_f16 v5, v7, v8
	v_add_nc_u32_e32 v7, 0x200, v49
	v_pack_b32_f16 v3, v3, v6
	v_pack_b32_f16 v6, v19, v31
	v_add_nc_u32_e32 v8, 0x900, v49
	;; [unrolled: 3-line block ×4, first 2 shown]
	v_pack_b32_f16 v0, v0, v2
	ds_write2_b32 v7, v1, v5 offset0:25 offset1:246
	ds_write2_b32 v8, v3, v6 offset0:19 offset1:240
	ds_write2_b32 v11, v13, v4 offset0:13 offset1:234
	ds_write2_b32 v12, v9, v10 offset0:7 offset1:228
	ds_write_b32 v49, v0 offset:7684
.LBB0_21:
	s_or_b32 exec_lo, exec_lo, s1
	s_waitcnt lgkmcnt(0)
	s_barrier
	buffer_gl0_inv
	s_and_b32 exec_lo, exec_lo, vcc_lo
	s_cbranch_execz .LBB0_23
; %bb.22:
	global_load_dword v0, v49, s[12:13]
	ds_read_b32 v1, v49
	s_mov_b32 s8, 0x10798010
	s_mov_b32 s9, 0x3f407980
	v_mad_u64_u32 v[6:7], null, s4, v50, 0
	s_mul_hi_u32 s3, s4, 0x1d4
	s_mulk_i32 s4, 0x1d4
	s_waitcnt lgkmcnt(0)
	v_lshrrev_b32_e32 v2, 16, v1
	s_waitcnt vmcnt(0)
	v_mul_f16_sdwa v3, v2, v0 dst_sel:DWORD dst_unused:UNUSED_PAD src0_sel:DWORD src1_sel:WORD_1
	v_mul_f16_sdwa v4, v1, v0 dst_sel:DWORD dst_unused:UNUSED_PAD src0_sel:DWORD src1_sel:WORD_1
	v_fmac_f16_e32 v3, v1, v0
	v_fma_f16 v0, v0, v2, -v4
	v_mad_u64_u32 v[4:5], null, s6, v28, 0
	v_cvt_f32_f16_e32 v1, v3
	v_cvt_f32_f16_e32 v2, v0
	v_cvt_f64_f32_e32 v[0:1], v1
	v_cvt_f64_f32_e32 v[2:3], v2
	v_mul_f64 v[0:1], v[0:1], s[8:9]
	v_mul_f64 v[2:3], v[2:3], s[8:9]
	v_and_or_b32 v0, 0x1ff, v1, v0
	v_and_or_b32 v2, 0x1ff, v3, v2
	v_lshrrev_b32_e32 v8, 8, v1
	v_bfe_u32 v10, v1, 20, 11
	v_lshrrev_b32_e32 v9, 8, v3
	v_cmp_ne_u32_e32 vcc_lo, 0, v0
	v_bfe_u32 v11, v3, 20, 11
	v_mov_b32_e32 v0, v7
	v_sub_nc_u32_e32 v13, 0x3f1, v10
	v_add_nc_u32_e32 v10, 0xfffffc10, v10
	v_cndmask_b32_e64 v12, 0, 1, vcc_lo
	v_cmp_ne_u32_e32 vcc_lo, 0, v2
	v_sub_nc_u32_e32 v14, 0x3f1, v11
	v_med3_i32 v13, v13, 0, 13
	v_add_nc_u32_e32 v11, 0xfffffc10, v11
	v_and_or_b32 v12, 0xffe, v8, v12
	v_cndmask_b32_e64 v2, 0, 1, vcc_lo
	v_mad_u64_u32 v[7:8], null, s7, v28, v[5:6]
	v_med3_i32 v14, v14, 0, 13
	v_or_b32_e32 v15, 0x1000, v12
	v_and_or_b32 v2, 0xffe, v9, v2
	v_mad_u64_u32 v[8:9], null, s5, v50, v[0:1]
	v_lshrrev_b32_e32 v3, 16, v3
	v_lshrrev_b32_e32 v0, v13, v15
	v_or_b32_e32 v16, 0x1000, v2
	v_mov_b32_e32 v5, v7
	v_mov_b32_e32 v7, v8
	v_lshrrev_b32_e32 v9, v14, v16
	v_lshlrev_b32_e32 v13, v13, v0
	v_lshlrev_b64 v[4:5], 2, v[4:5]
	v_lshlrev_b32_e32 v8, v14, v9
	v_cmp_ne_u32_e32 vcc_lo, v13, v15
	v_lshl_or_b32 v14, v10, 12, v12
	v_cndmask_b32_e64 v13, 0, 1, vcc_lo
	v_cmp_ne_u32_e32 vcc_lo, v8, v16
	v_or_b32_e32 v0, v0, v13
	v_cndmask_b32_e64 v8, 0, 1, vcc_lo
	v_cmp_gt_i32_e32 vcc_lo, 1, v10
	v_lshl_or_b32 v13, v11, 12, v2
	v_or_b32_e32 v8, v9, v8
	v_cndmask_b32_e32 v0, v14, v0, vcc_lo
	v_cmp_gt_i32_e32 vcc_lo, 1, v11
	v_lshrrev_b32_e32 v9, 16, v1
	v_cndmask_b32_e32 v1, v13, v8, vcc_lo
	v_cmp_ne_u32_e32 vcc_lo, 0, v12
	v_and_b32_e32 v12, 7, v0
	v_lshrrev_b32_e32 v0, 2, v0
	v_and_b32_e32 v13, 7, v1
	v_cndmask_b32_e64 v8, 0, 1, vcc_lo
	v_cmp_ne_u32_e32 vcc_lo, 0, v2
	v_cmp_eq_u32_e64 s0, 3, v12
	v_lshrrev_b32_e32 v1, 2, v1
	v_cmp_lt_i32_e64 s1, 5, v13
	v_cmp_eq_u32_e64 s2, 3, v13
	v_cndmask_b32_e64 v2, 0, 1, vcc_lo
	v_cmp_lt_i32_e32 vcc_lo, 5, v12
	v_lshl_or_b32 v8, v8, 9, 0x7c00
	v_lshl_or_b32 v2, v2, 9, 0x7c00
	s_or_b32 vcc_lo, s0, vcc_lo
	v_add_co_ci_u32_e32 v0, vcc_lo, 0, v0, vcc_lo
	s_or_b32 vcc_lo, s2, s1
	v_add_co_ci_u32_e32 v1, vcc_lo, 0, v1, vcc_lo
	v_cmp_gt_i32_e32 vcc_lo, 31, v10
	v_cndmask_b32_e32 v0, 0x7c00, v0, vcc_lo
	v_cmp_gt_i32_e32 vcc_lo, 31, v11
	v_cndmask_b32_e32 v12, 0x7c00, v1, vcc_lo
	v_cmp_eq_u32_e32 vcc_lo, 0x40f, v10
	v_cndmask_b32_e32 v8, v0, v8, vcc_lo
	v_cmp_eq_u32_e32 vcc_lo, 0x40f, v11
	v_lshlrev_b64 v[0:1], 2, v[6:7]
	v_and_or_b32 v6, 0x8000, v9, v8
	v_cndmask_b32_e32 v2, v12, v2, vcc_lo
	v_add_co_u32 v4, vcc_lo, s14, v4
	v_add_co_ci_u32_e32 v5, vcc_lo, s15, v5, vcc_lo
	v_and_or_b32 v2, 0x8000, v3, v2
	v_and_b32_e32 v3, 0xffff, v6
	v_add_co_u32 v0, vcc_lo, v4, v0
	v_add_co_ci_u32_e32 v1, vcc_lo, v5, v1, vcc_lo
	v_lshl_or_b32 v2, v2, 16, v3
	global_store_dword v[0:1], v2, off
	global_load_dword v4, v49, s[12:13] offset:468
	ds_read2_b32 v[2:3], v49 offset0:117 offset1:234
	s_waitcnt lgkmcnt(0)
	v_lshrrev_b32_e32 v5, 16, v2
	s_waitcnt vmcnt(0)
	v_mul_f16_sdwa v6, v5, v4 dst_sel:DWORD dst_unused:UNUSED_PAD src0_sel:DWORD src1_sel:WORD_1
	v_mul_f16_sdwa v7, v2, v4 dst_sel:DWORD dst_unused:UNUSED_PAD src0_sel:DWORD src1_sel:WORD_1
	v_fmac_f16_e32 v6, v2, v4
	v_fma_f16 v2, v4, v5, -v7
	v_cvt_f32_f16_e32 v4, v6
	v_cvt_f32_f16_e32 v2, v2
	v_cvt_f64_f32_e32 v[4:5], v4
	v_cvt_f64_f32_e32 v[6:7], v2
	v_mul_f64 v[4:5], v[4:5], s[8:9]
	v_mul_f64 v[6:7], v[6:7], s[8:9]
	v_and_or_b32 v2, 0x1ff, v5, v4
	v_and_or_b32 v6, 0x1ff, v7, v6
	v_lshrrev_b32_e32 v4, 8, v5
	v_bfe_u32 v8, v5, 20, 11
	v_lshrrev_b32_e32 v9, 8, v7
	v_cmp_ne_u32_e32 vcc_lo, 0, v2
	v_bfe_u32 v10, v7, 20, 11
	v_lshrrev_b32_e32 v5, 16, v5
	v_sub_nc_u32_e32 v11, 0x3f1, v8
	v_add_nc_u32_e32 v8, 0xfffffc10, v8
	v_cndmask_b32_e64 v2, 0, 1, vcc_lo
	v_cmp_ne_u32_e32 vcc_lo, 0, v6
	v_lshrrev_b32_e32 v7, 16, v7
	v_and_or_b32 v2, 0xffe, v4, v2
	v_cndmask_b32_e64 v6, 0, 1, vcc_lo
	v_sub_nc_u32_e32 v4, 0x3f1, v10
	v_add_nc_u32_e32 v10, 0xfffffc10, v10
	v_and_or_b32 v6, 0xffe, v9, v6
	v_med3_i32 v9, v11, 0, 13
	v_or_b32_e32 v11, 0x1000, v2
	v_med3_i32 v4, v4, 0, 13
	v_or_b32_e32 v12, 0x1000, v6
	v_lshrrev_b32_e32 v13, v9, v11
	v_lshrrev_b32_e32 v14, v4, v12
	v_lshlrev_b32_e32 v9, v9, v13
	v_lshlrev_b32_e32 v4, v4, v14
	v_cmp_ne_u32_e32 vcc_lo, v9, v11
	v_lshl_or_b32 v11, v8, 12, v2
	v_cndmask_b32_e64 v9, 0, 1, vcc_lo
	v_cmp_ne_u32_e32 vcc_lo, v4, v12
	v_lshl_or_b32 v12, v10, 12, v6
	v_or_b32_e32 v9, v13, v9
	v_cndmask_b32_e64 v4, 0, 1, vcc_lo
	v_cmp_gt_i32_e32 vcc_lo, 1, v8
	v_or_b32_e32 v4, v14, v4
	v_cndmask_b32_e32 v9, v11, v9, vcc_lo
	v_cmp_gt_i32_e32 vcc_lo, 1, v10
	v_and_b32_e32 v11, 7, v9
	v_cndmask_b32_e32 v4, v12, v4, vcc_lo
	v_cmp_ne_u32_e32 vcc_lo, 0, v2
	v_lshrrev_b32_e32 v9, 2, v9
	v_cmp_eq_u32_e64 s0, 3, v11
	v_and_b32_e32 v12, 7, v4
	v_cndmask_b32_e64 v2, 0, 1, vcc_lo
	v_cmp_ne_u32_e32 vcc_lo, 0, v6
	v_lshrrev_b32_e32 v4, 2, v4
	v_cmp_lt_i32_e64 s1, 5, v12
	v_cmp_eq_u32_e64 s2, 3, v12
	v_cndmask_b32_e64 v6, 0, 1, vcc_lo
	v_cmp_lt_i32_e32 vcc_lo, 5, v11
	v_lshl_or_b32 v2, v2, 9, 0x7c00
	v_lshl_or_b32 v6, v6, 9, 0x7c00
	s_or_b32 vcc_lo, s0, vcc_lo
	s_mul_i32 s0, s5, 0x1d4
	v_add_co_ci_u32_e32 v9, vcc_lo, 0, v9, vcc_lo
	s_or_b32 vcc_lo, s2, s1
	s_add_i32 s3, s3, s0
	v_add_co_ci_u32_e32 v4, vcc_lo, 0, v4, vcc_lo
	v_cmp_gt_i32_e32 vcc_lo, 31, v8
	v_cndmask_b32_e32 v9, 0x7c00, v9, vcc_lo
	v_cmp_gt_i32_e32 vcc_lo, 31, v10
	v_cndmask_b32_e32 v4, 0x7c00, v4, vcc_lo
	v_cmp_eq_u32_e32 vcc_lo, 0x40f, v8
	v_cndmask_b32_e32 v2, v9, v2, vcc_lo
	v_cmp_eq_u32_e32 vcc_lo, 0x40f, v10
	v_and_or_b32 v2, 0x8000, v5, v2
	v_cndmask_b32_e32 v4, v4, v6, vcc_lo
	v_add_co_u32 v0, vcc_lo, v0, s4
	v_add_co_ci_u32_e32 v1, vcc_lo, s3, v1, vcc_lo
	v_and_or_b32 v4, 0x8000, v7, v4
	v_and_b32_e32 v2, 0xffff, v2
	v_lshl_or_b32 v2, v4, 16, v2
	v_lshrrev_b32_e32 v4, 16, v3
	global_store_dword v[0:1], v2, off
	global_load_dword v2, v49, s[12:13] offset:936
	s_waitcnt vmcnt(0)
	v_mul_f16_sdwa v5, v4, v2 dst_sel:DWORD dst_unused:UNUSED_PAD src0_sel:DWORD src1_sel:WORD_1
	v_mul_f16_sdwa v6, v3, v2 dst_sel:DWORD dst_unused:UNUSED_PAD src0_sel:DWORD src1_sel:WORD_1
	v_fmac_f16_e32 v5, v3, v2
	v_fma_f16 v2, v2, v4, -v6
	v_cvt_f32_f16_e32 v3, v5
	v_cvt_f32_f16_e32 v4, v2
	v_cvt_f64_f32_e32 v[2:3], v3
	v_cvt_f64_f32_e32 v[4:5], v4
	v_mul_f64 v[2:3], v[2:3], s[8:9]
	v_mul_f64 v[4:5], v[4:5], s[8:9]
	v_and_or_b32 v2, 0x1ff, v3, v2
	v_and_or_b32 v4, 0x1ff, v5, v4
	v_lshrrev_b32_e32 v6, 8, v3
	v_bfe_u32 v7, v3, 20, 11
	v_lshrrev_b32_e32 v8, 8, v5
	v_cmp_ne_u32_e32 vcc_lo, 0, v2
	v_bfe_u32 v9, v5, 20, 11
	v_lshrrev_b32_e32 v3, 16, v3
	v_sub_nc_u32_e32 v10, 0x3f1, v7
	v_add_nc_u32_e32 v7, 0xfffffc10, v7
	v_cndmask_b32_e64 v2, 0, 1, vcc_lo
	v_cmp_ne_u32_e32 vcc_lo, 0, v4
	v_lshrrev_b32_e32 v5, 16, v5
	v_and_or_b32 v2, 0xffe, v6, v2
	v_cndmask_b32_e64 v4, 0, 1, vcc_lo
	v_sub_nc_u32_e32 v6, 0x3f1, v9
	v_add_nc_u32_e32 v9, 0xfffffc10, v9
	v_and_or_b32 v4, 0xffe, v8, v4
	v_med3_i32 v8, v10, 0, 13
	v_or_b32_e32 v10, 0x1000, v2
	v_med3_i32 v6, v6, 0, 13
	v_or_b32_e32 v11, 0x1000, v4
	v_lshrrev_b32_e32 v12, v8, v10
	v_lshrrev_b32_e32 v13, v6, v11
	v_lshlrev_b32_e32 v8, v8, v12
	v_lshlrev_b32_e32 v6, v6, v13
	v_cmp_ne_u32_e32 vcc_lo, v8, v10
	v_lshl_or_b32 v10, v7, 12, v2
	v_cndmask_b32_e64 v8, 0, 1, vcc_lo
	v_cmp_ne_u32_e32 vcc_lo, v6, v11
	v_lshl_or_b32 v11, v9, 12, v4
	v_or_b32_e32 v8, v12, v8
	v_cndmask_b32_e64 v6, 0, 1, vcc_lo
	v_cmp_gt_i32_e32 vcc_lo, 1, v7
	v_or_b32_e32 v6, v13, v6
	v_cndmask_b32_e32 v8, v10, v8, vcc_lo
	v_cmp_gt_i32_e32 vcc_lo, 1, v9
	v_and_b32_e32 v10, 7, v8
	v_cndmask_b32_e32 v6, v11, v6, vcc_lo
	v_cmp_ne_u32_e32 vcc_lo, 0, v2
	v_lshrrev_b32_e32 v8, 2, v8
	v_cmp_eq_u32_e64 s0, 3, v10
	v_and_b32_e32 v11, 7, v6
	v_cndmask_b32_e64 v2, 0, 1, vcc_lo
	v_cmp_ne_u32_e32 vcc_lo, 0, v4
	v_lshrrev_b32_e32 v6, 2, v6
	v_cmp_lt_i32_e64 s1, 5, v11
	v_cmp_eq_u32_e64 s2, 3, v11
	v_cndmask_b32_e64 v4, 0, 1, vcc_lo
	v_cmp_lt_i32_e32 vcc_lo, 5, v10
	v_lshl_or_b32 v2, v2, 9, 0x7c00
	v_lshl_or_b32 v4, v4, 9, 0x7c00
	s_or_b32 vcc_lo, s0, vcc_lo
	v_add_co_ci_u32_e32 v8, vcc_lo, 0, v8, vcc_lo
	s_or_b32 vcc_lo, s2, s1
	v_add_co_ci_u32_e32 v6, vcc_lo, 0, v6, vcc_lo
	v_cmp_gt_i32_e32 vcc_lo, 31, v7
	v_cndmask_b32_e32 v8, 0x7c00, v8, vcc_lo
	v_cmp_gt_i32_e32 vcc_lo, 31, v9
	v_cndmask_b32_e32 v6, 0x7c00, v6, vcc_lo
	v_cmp_eq_u32_e32 vcc_lo, 0x40f, v7
	v_cndmask_b32_e32 v2, v8, v2, vcc_lo
	v_cmp_eq_u32_e32 vcc_lo, 0x40f, v9
	v_and_or_b32 v2, 0x8000, v3, v2
	v_cndmask_b32_e32 v4, v6, v4, vcc_lo
	v_add_co_u32 v0, vcc_lo, v0, s4
	v_add_co_ci_u32_e32 v1, vcc_lo, s3, v1, vcc_lo
	v_and_or_b32 v3, 0x8000, v5, v4
	v_and_b32_e32 v2, 0xffff, v2
	v_lshl_or_b32 v2, v3, 16, v2
	global_store_dword v[0:1], v2, off
	global_load_dword v4, v49, s[12:13] offset:1404
	v_add_nc_u32_e32 v2, 0x400, v49
	ds_read2_b32 v[2:3], v2 offset0:95 offset1:212
	s_waitcnt lgkmcnt(0)
	v_lshrrev_b32_e32 v5, 16, v2
	s_waitcnt vmcnt(0)
	v_mul_f16_sdwa v6, v5, v4 dst_sel:DWORD dst_unused:UNUSED_PAD src0_sel:DWORD src1_sel:WORD_1
	v_mul_f16_sdwa v7, v2, v4 dst_sel:DWORD dst_unused:UNUSED_PAD src0_sel:DWORD src1_sel:WORD_1
	v_fmac_f16_e32 v6, v2, v4
	v_fma_f16 v2, v4, v5, -v7
	v_cvt_f32_f16_e32 v4, v6
	v_cvt_f32_f16_e32 v2, v2
	v_cvt_f64_f32_e32 v[4:5], v4
	v_cvt_f64_f32_e32 v[6:7], v2
	v_mul_f64 v[4:5], v[4:5], s[8:9]
	v_mul_f64 v[6:7], v[6:7], s[8:9]
	v_and_or_b32 v2, 0x1ff, v5, v4
	v_and_or_b32 v6, 0x1ff, v7, v6
	v_lshrrev_b32_e32 v4, 8, v5
	v_bfe_u32 v8, v5, 20, 11
	v_lshrrev_b32_e32 v9, 8, v7
	v_cmp_ne_u32_e32 vcc_lo, 0, v2
	v_bfe_u32 v10, v7, 20, 11
	v_lshrrev_b32_e32 v5, 16, v5
	v_sub_nc_u32_e32 v11, 0x3f1, v8
	v_add_nc_u32_e32 v8, 0xfffffc10, v8
	v_cndmask_b32_e64 v2, 0, 1, vcc_lo
	v_cmp_ne_u32_e32 vcc_lo, 0, v6
	v_lshrrev_b32_e32 v7, 16, v7
	v_and_or_b32 v2, 0xffe, v4, v2
	v_cndmask_b32_e64 v6, 0, 1, vcc_lo
	v_sub_nc_u32_e32 v4, 0x3f1, v10
	v_add_nc_u32_e32 v10, 0xfffffc10, v10
	v_and_or_b32 v6, 0xffe, v9, v6
	v_med3_i32 v9, v11, 0, 13
	v_or_b32_e32 v11, 0x1000, v2
	v_med3_i32 v4, v4, 0, 13
	v_or_b32_e32 v12, 0x1000, v6
	v_lshrrev_b32_e32 v13, v9, v11
	v_lshrrev_b32_e32 v14, v4, v12
	v_lshlrev_b32_e32 v9, v9, v13
	v_lshlrev_b32_e32 v4, v4, v14
	v_cmp_ne_u32_e32 vcc_lo, v9, v11
	v_lshl_or_b32 v11, v8, 12, v2
	v_cndmask_b32_e64 v9, 0, 1, vcc_lo
	v_cmp_ne_u32_e32 vcc_lo, v4, v12
	v_lshl_or_b32 v12, v10, 12, v6
	v_or_b32_e32 v9, v13, v9
	v_cndmask_b32_e64 v4, 0, 1, vcc_lo
	v_cmp_gt_i32_e32 vcc_lo, 1, v8
	v_or_b32_e32 v4, v14, v4
	v_cndmask_b32_e32 v9, v11, v9, vcc_lo
	v_cmp_gt_i32_e32 vcc_lo, 1, v10
	v_and_b32_e32 v11, 7, v9
	v_cndmask_b32_e32 v4, v12, v4, vcc_lo
	v_cmp_ne_u32_e32 vcc_lo, 0, v2
	v_lshrrev_b32_e32 v9, 2, v9
	v_cmp_eq_u32_e64 s0, 3, v11
	v_and_b32_e32 v12, 7, v4
	v_cndmask_b32_e64 v2, 0, 1, vcc_lo
	v_cmp_ne_u32_e32 vcc_lo, 0, v6
	v_lshrrev_b32_e32 v4, 2, v4
	v_cmp_lt_i32_e64 s1, 5, v12
	v_cmp_eq_u32_e64 s2, 3, v12
	v_cndmask_b32_e64 v6, 0, 1, vcc_lo
	v_cmp_lt_i32_e32 vcc_lo, 5, v11
	v_lshl_or_b32 v2, v2, 9, 0x7c00
	v_lshl_or_b32 v6, v6, 9, 0x7c00
	s_or_b32 vcc_lo, s0, vcc_lo
	v_add_co_ci_u32_e32 v9, vcc_lo, 0, v9, vcc_lo
	s_or_b32 vcc_lo, s2, s1
	v_add_co_ci_u32_e32 v4, vcc_lo, 0, v4, vcc_lo
	v_cmp_gt_i32_e32 vcc_lo, 31, v8
	v_cndmask_b32_e32 v9, 0x7c00, v9, vcc_lo
	v_cmp_gt_i32_e32 vcc_lo, 31, v10
	v_cndmask_b32_e32 v4, 0x7c00, v4, vcc_lo
	v_cmp_eq_u32_e32 vcc_lo, 0x40f, v8
	v_cndmask_b32_e32 v2, v9, v2, vcc_lo
	v_cmp_eq_u32_e32 vcc_lo, 0x40f, v10
	v_and_or_b32 v2, 0x8000, v5, v2
	v_cndmask_b32_e32 v4, v4, v6, vcc_lo
	v_add_co_u32 v0, vcc_lo, v0, s4
	v_add_co_ci_u32_e32 v1, vcc_lo, s3, v1, vcc_lo
	v_and_or_b32 v4, 0x8000, v7, v4
	v_and_b32_e32 v2, 0xffff, v2
	v_lshl_or_b32 v2, v4, 16, v2
	v_lshrrev_b32_e32 v4, 16, v3
	global_store_dword v[0:1], v2, off
	global_load_dword v2, v49, s[12:13] offset:1872
	s_waitcnt vmcnt(0)
	v_mul_f16_sdwa v5, v4, v2 dst_sel:DWORD dst_unused:UNUSED_PAD src0_sel:DWORD src1_sel:WORD_1
	v_mul_f16_sdwa v6, v3, v2 dst_sel:DWORD dst_unused:UNUSED_PAD src0_sel:DWORD src1_sel:WORD_1
	v_fmac_f16_e32 v5, v3, v2
	v_fma_f16 v2, v2, v4, -v6
	v_cvt_f32_f16_e32 v3, v5
	v_cvt_f32_f16_e32 v4, v2
	v_cvt_f64_f32_e32 v[2:3], v3
	v_cvt_f64_f32_e32 v[4:5], v4
	v_mul_f64 v[2:3], v[2:3], s[8:9]
	v_mul_f64 v[4:5], v[4:5], s[8:9]
	v_and_or_b32 v2, 0x1ff, v3, v2
	v_and_or_b32 v4, 0x1ff, v5, v4
	v_lshrrev_b32_e32 v6, 8, v3
	v_bfe_u32 v7, v3, 20, 11
	v_lshrrev_b32_e32 v8, 8, v5
	v_cmp_ne_u32_e32 vcc_lo, 0, v2
	v_bfe_u32 v9, v5, 20, 11
	v_lshrrev_b32_e32 v3, 16, v3
	v_sub_nc_u32_e32 v10, 0x3f1, v7
	v_add_nc_u32_e32 v7, 0xfffffc10, v7
	v_cndmask_b32_e64 v2, 0, 1, vcc_lo
	v_cmp_ne_u32_e32 vcc_lo, 0, v4
	v_lshrrev_b32_e32 v5, 16, v5
	v_and_or_b32 v2, 0xffe, v6, v2
	v_cndmask_b32_e64 v4, 0, 1, vcc_lo
	v_sub_nc_u32_e32 v6, 0x3f1, v9
	v_add_nc_u32_e32 v9, 0xfffffc10, v9
	v_and_or_b32 v4, 0xffe, v8, v4
	v_med3_i32 v8, v10, 0, 13
	v_or_b32_e32 v10, 0x1000, v2
	v_med3_i32 v6, v6, 0, 13
	v_or_b32_e32 v11, 0x1000, v4
	v_lshrrev_b32_e32 v12, v8, v10
	v_lshrrev_b32_e32 v13, v6, v11
	v_lshlrev_b32_e32 v8, v8, v12
	v_lshlrev_b32_e32 v6, v6, v13
	v_cmp_ne_u32_e32 vcc_lo, v8, v10
	v_lshl_or_b32 v10, v7, 12, v2
	v_cndmask_b32_e64 v8, 0, 1, vcc_lo
	v_cmp_ne_u32_e32 vcc_lo, v6, v11
	v_lshl_or_b32 v11, v9, 12, v4
	v_or_b32_e32 v8, v12, v8
	v_cndmask_b32_e64 v6, 0, 1, vcc_lo
	v_cmp_gt_i32_e32 vcc_lo, 1, v7
	v_or_b32_e32 v6, v13, v6
	v_cndmask_b32_e32 v8, v10, v8, vcc_lo
	v_cmp_gt_i32_e32 vcc_lo, 1, v9
	v_and_b32_e32 v10, 7, v8
	v_cndmask_b32_e32 v6, v11, v6, vcc_lo
	v_cmp_ne_u32_e32 vcc_lo, 0, v2
	v_lshrrev_b32_e32 v8, 2, v8
	v_cmp_eq_u32_e64 s0, 3, v10
	v_and_b32_e32 v11, 7, v6
	v_cndmask_b32_e64 v2, 0, 1, vcc_lo
	v_cmp_ne_u32_e32 vcc_lo, 0, v4
	v_lshrrev_b32_e32 v6, 2, v6
	v_cmp_lt_i32_e64 s1, 5, v11
	v_cmp_eq_u32_e64 s2, 3, v11
	v_cndmask_b32_e64 v4, 0, 1, vcc_lo
	v_cmp_lt_i32_e32 vcc_lo, 5, v10
	v_lshl_or_b32 v2, v2, 9, 0x7c00
	v_lshl_or_b32 v4, v4, 9, 0x7c00
	s_or_b32 vcc_lo, s0, vcc_lo
	v_add_co_ci_u32_e32 v8, vcc_lo, 0, v8, vcc_lo
	s_or_b32 vcc_lo, s2, s1
	v_add_co_ci_u32_e32 v6, vcc_lo, 0, v6, vcc_lo
	v_cmp_gt_i32_e32 vcc_lo, 31, v7
	v_cndmask_b32_e32 v8, 0x7c00, v8, vcc_lo
	v_cmp_gt_i32_e32 vcc_lo, 31, v9
	v_cndmask_b32_e32 v6, 0x7c00, v6, vcc_lo
	v_cmp_eq_u32_e32 vcc_lo, 0x40f, v7
	v_cndmask_b32_e32 v2, v8, v2, vcc_lo
	v_cmp_eq_u32_e32 vcc_lo, 0x40f, v9
	v_cndmask_b32_e32 v4, v6, v4, vcc_lo
	v_and_or_b32 v6, 0x8000, v3, v2
	v_add_co_u32 v2, s0, s12, v49
	v_add_co_ci_u32_e64 v3, null, s13, 0, s0
	v_and_or_b32 v4, 0x8000, v5, v4
	v_and_b32_e32 v5, 0xffff, v6
	v_add_co_u32 v0, vcc_lo, v0, s4
	v_add_co_ci_u32_e32 v1, vcc_lo, s3, v1, vcc_lo
	v_lshl_or_b32 v6, v4, 16, v5
	v_add_co_u32 v4, vcc_lo, 0x800, v2
	v_add_co_ci_u32_e32 v5, vcc_lo, 0, v3, vcc_lo
	global_store_dword v[0:1], v6, off
	v_add_nc_u32_e32 v6, 0x800, v49
	global_load_dword v8, v[4:5], off offset:292
	ds_read2_b32 v[6:7], v6 offset0:73 offset1:190
	s_waitcnt lgkmcnt(0)
	v_lshrrev_b32_e32 v9, 16, v6
	s_waitcnt vmcnt(0)
	v_mul_f16_sdwa v10, v9, v8 dst_sel:DWORD dst_unused:UNUSED_PAD src0_sel:DWORD src1_sel:WORD_1
	v_mul_f16_sdwa v11, v6, v8 dst_sel:DWORD dst_unused:UNUSED_PAD src0_sel:DWORD src1_sel:WORD_1
	v_fmac_f16_e32 v10, v6, v8
	v_fma_f16 v6, v8, v9, -v11
	v_cvt_f32_f16_e32 v8, v10
	v_cvt_f32_f16_e32 v6, v6
	v_cvt_f64_f32_e32 v[8:9], v8
	v_cvt_f64_f32_e32 v[10:11], v6
	v_mul_f64 v[8:9], v[8:9], s[8:9]
	v_mul_f64 v[10:11], v[10:11], s[8:9]
	v_and_or_b32 v6, 0x1ff, v9, v8
	v_and_or_b32 v10, 0x1ff, v11, v10
	v_lshrrev_b32_e32 v8, 8, v9
	v_bfe_u32 v12, v9, 20, 11
	v_lshrrev_b32_e32 v13, 8, v11
	v_cmp_ne_u32_e32 vcc_lo, 0, v6
	v_bfe_u32 v14, v11, 20, 11
	v_lshrrev_b32_e32 v9, 16, v9
	v_sub_nc_u32_e32 v15, 0x3f1, v12
	v_add_nc_u32_e32 v12, 0xfffffc10, v12
	v_cndmask_b32_e64 v6, 0, 1, vcc_lo
	v_cmp_ne_u32_e32 vcc_lo, 0, v10
	v_lshrrev_b32_e32 v11, 16, v11
	v_and_or_b32 v6, 0xffe, v8, v6
	v_cndmask_b32_e64 v10, 0, 1, vcc_lo
	v_sub_nc_u32_e32 v8, 0x3f1, v14
	v_add_nc_u32_e32 v14, 0xfffffc10, v14
	v_and_or_b32 v10, 0xffe, v13, v10
	v_med3_i32 v13, v15, 0, 13
	v_or_b32_e32 v15, 0x1000, v6
	v_med3_i32 v8, v8, 0, 13
	v_or_b32_e32 v16, 0x1000, v10
	v_lshrrev_b32_e32 v17, v13, v15
	v_lshrrev_b32_e32 v18, v8, v16
	v_lshlrev_b32_e32 v13, v13, v17
	v_lshlrev_b32_e32 v8, v8, v18
	v_cmp_ne_u32_e32 vcc_lo, v13, v15
	v_lshl_or_b32 v15, v12, 12, v6
	v_cndmask_b32_e64 v13, 0, 1, vcc_lo
	v_cmp_ne_u32_e32 vcc_lo, v8, v16
	v_lshl_or_b32 v16, v14, 12, v10
	v_or_b32_e32 v13, v17, v13
	v_cndmask_b32_e64 v8, 0, 1, vcc_lo
	v_cmp_gt_i32_e32 vcc_lo, 1, v12
	v_or_b32_e32 v8, v18, v8
	v_cndmask_b32_e32 v13, v15, v13, vcc_lo
	v_cmp_gt_i32_e32 vcc_lo, 1, v14
	v_and_b32_e32 v15, 7, v13
	v_cndmask_b32_e32 v8, v16, v8, vcc_lo
	v_cmp_ne_u32_e32 vcc_lo, 0, v6
	v_lshrrev_b32_e32 v13, 2, v13
	v_cmp_eq_u32_e64 s0, 3, v15
	v_and_b32_e32 v16, 7, v8
	v_cndmask_b32_e64 v6, 0, 1, vcc_lo
	v_cmp_ne_u32_e32 vcc_lo, 0, v10
	v_lshrrev_b32_e32 v8, 2, v8
	v_cmp_lt_i32_e64 s1, 5, v16
	v_cmp_eq_u32_e64 s2, 3, v16
	v_cndmask_b32_e64 v10, 0, 1, vcc_lo
	v_cmp_lt_i32_e32 vcc_lo, 5, v15
	v_lshl_or_b32 v6, v6, 9, 0x7c00
	v_lshl_or_b32 v10, v10, 9, 0x7c00
	s_or_b32 vcc_lo, s0, vcc_lo
	v_add_co_ci_u32_e32 v13, vcc_lo, 0, v13, vcc_lo
	s_or_b32 vcc_lo, s2, s1
	v_add_co_ci_u32_e32 v8, vcc_lo, 0, v8, vcc_lo
	v_cmp_gt_i32_e32 vcc_lo, 31, v12
	v_cndmask_b32_e32 v13, 0x7c00, v13, vcc_lo
	v_cmp_gt_i32_e32 vcc_lo, 31, v14
	v_cndmask_b32_e32 v8, 0x7c00, v8, vcc_lo
	v_cmp_eq_u32_e32 vcc_lo, 0x40f, v12
	v_cndmask_b32_e32 v6, v13, v6, vcc_lo
	v_cmp_eq_u32_e32 vcc_lo, 0x40f, v14
	v_and_or_b32 v6, 0x8000, v9, v6
	v_cndmask_b32_e32 v8, v8, v10, vcc_lo
	v_add_co_u32 v0, vcc_lo, v0, s4
	v_add_co_ci_u32_e32 v1, vcc_lo, s3, v1, vcc_lo
	v_and_or_b32 v8, 0x8000, v11, v8
	v_and_b32_e32 v6, 0xffff, v6
	v_lshl_or_b32 v6, v8, 16, v6
	v_lshrrev_b32_e32 v8, 16, v7
	global_store_dword v[0:1], v6, off
	global_load_dword v6, v[4:5], off offset:760
	s_waitcnt vmcnt(0)
	v_mul_f16_sdwa v9, v8, v6 dst_sel:DWORD dst_unused:UNUSED_PAD src0_sel:DWORD src1_sel:WORD_1
	v_mul_f16_sdwa v10, v7, v6 dst_sel:DWORD dst_unused:UNUSED_PAD src0_sel:DWORD src1_sel:WORD_1
	v_fmac_f16_e32 v9, v7, v6
	v_fma_f16 v6, v6, v8, -v10
	v_cvt_f32_f16_e32 v7, v9
	v_cvt_f32_f16_e32 v8, v6
	v_cvt_f64_f32_e32 v[6:7], v7
	v_cvt_f64_f32_e32 v[8:9], v8
	v_mul_f64 v[6:7], v[6:7], s[8:9]
	v_mul_f64 v[8:9], v[8:9], s[8:9]
	v_and_or_b32 v6, 0x1ff, v7, v6
	v_and_or_b32 v8, 0x1ff, v9, v8
	v_lshrrev_b32_e32 v10, 8, v7
	v_bfe_u32 v11, v7, 20, 11
	v_lshrrev_b32_e32 v12, 8, v9
	v_cmp_ne_u32_e32 vcc_lo, 0, v6
	v_bfe_u32 v13, v9, 20, 11
	v_lshrrev_b32_e32 v7, 16, v7
	v_sub_nc_u32_e32 v14, 0x3f1, v11
	v_add_nc_u32_e32 v11, 0xfffffc10, v11
	v_cndmask_b32_e64 v6, 0, 1, vcc_lo
	v_cmp_ne_u32_e32 vcc_lo, 0, v8
	v_lshrrev_b32_e32 v9, 16, v9
	v_and_or_b32 v6, 0xffe, v10, v6
	v_cndmask_b32_e64 v8, 0, 1, vcc_lo
	v_sub_nc_u32_e32 v10, 0x3f1, v13
	v_add_nc_u32_e32 v13, 0xfffffc10, v13
	v_and_or_b32 v8, 0xffe, v12, v8
	v_med3_i32 v12, v14, 0, 13
	v_or_b32_e32 v14, 0x1000, v6
	v_med3_i32 v10, v10, 0, 13
	v_or_b32_e32 v15, 0x1000, v8
	v_lshrrev_b32_e32 v16, v12, v14
	v_lshrrev_b32_e32 v17, v10, v15
	v_lshlrev_b32_e32 v12, v12, v16
	v_lshlrev_b32_e32 v10, v10, v17
	v_cmp_ne_u32_e32 vcc_lo, v12, v14
	v_lshl_or_b32 v14, v11, 12, v6
	v_cndmask_b32_e64 v12, 0, 1, vcc_lo
	v_cmp_ne_u32_e32 vcc_lo, v10, v15
	v_lshl_or_b32 v15, v13, 12, v8
	v_or_b32_e32 v12, v16, v12
	v_cndmask_b32_e64 v10, 0, 1, vcc_lo
	v_cmp_gt_i32_e32 vcc_lo, 1, v11
	v_or_b32_e32 v10, v17, v10
	v_cndmask_b32_e32 v12, v14, v12, vcc_lo
	v_cmp_gt_i32_e32 vcc_lo, 1, v13
	v_and_b32_e32 v14, 7, v12
	v_cndmask_b32_e32 v10, v15, v10, vcc_lo
	v_cmp_ne_u32_e32 vcc_lo, 0, v6
	v_lshrrev_b32_e32 v12, 2, v12
	v_cmp_eq_u32_e64 s0, 3, v14
	v_and_b32_e32 v15, 7, v10
	v_cndmask_b32_e64 v6, 0, 1, vcc_lo
	v_cmp_ne_u32_e32 vcc_lo, 0, v8
	v_lshrrev_b32_e32 v10, 2, v10
	v_cmp_lt_i32_e64 s1, 5, v15
	v_cmp_eq_u32_e64 s2, 3, v15
	v_cndmask_b32_e64 v8, 0, 1, vcc_lo
	v_cmp_lt_i32_e32 vcc_lo, 5, v14
	v_lshl_or_b32 v6, v6, 9, 0x7c00
	v_lshl_or_b32 v8, v8, 9, 0x7c00
	s_or_b32 vcc_lo, s0, vcc_lo
	v_add_co_ci_u32_e32 v12, vcc_lo, 0, v12, vcc_lo
	s_or_b32 vcc_lo, s2, s1
	v_add_co_ci_u32_e32 v10, vcc_lo, 0, v10, vcc_lo
	v_cmp_gt_i32_e32 vcc_lo, 31, v11
	v_cndmask_b32_e32 v12, 0x7c00, v12, vcc_lo
	v_cmp_gt_i32_e32 vcc_lo, 31, v13
	v_cndmask_b32_e32 v10, 0x7c00, v10, vcc_lo
	v_cmp_eq_u32_e32 vcc_lo, 0x40f, v11
	v_cndmask_b32_e32 v6, v12, v6, vcc_lo
	v_cmp_eq_u32_e32 vcc_lo, 0x40f, v13
	v_and_or_b32 v6, 0x8000, v7, v6
	v_cndmask_b32_e32 v8, v10, v8, vcc_lo
	v_add_co_u32 v0, vcc_lo, v0, s4
	v_add_co_ci_u32_e32 v1, vcc_lo, s3, v1, vcc_lo
	v_and_or_b32 v7, 0x8000, v9, v8
	v_and_b32_e32 v6, 0xffff, v6
	v_lshl_or_b32 v6, v7, 16, v6
	global_store_dword v[0:1], v6, off
	global_load_dword v8, v[4:5], off offset:1228
	v_add_nc_u32_e32 v6, 0xc00, v49
	ds_read2_b32 v[6:7], v6 offset0:51 offset1:168
	s_waitcnt lgkmcnt(0)
	v_lshrrev_b32_e32 v9, 16, v6
	s_waitcnt vmcnt(0)
	v_mul_f16_sdwa v10, v9, v8 dst_sel:DWORD dst_unused:UNUSED_PAD src0_sel:DWORD src1_sel:WORD_1
	v_mul_f16_sdwa v11, v6, v8 dst_sel:DWORD dst_unused:UNUSED_PAD src0_sel:DWORD src1_sel:WORD_1
	v_fmac_f16_e32 v10, v6, v8
	v_fma_f16 v6, v8, v9, -v11
	v_cvt_f32_f16_e32 v8, v10
	v_cvt_f32_f16_e32 v6, v6
	v_cvt_f64_f32_e32 v[8:9], v8
	v_cvt_f64_f32_e32 v[10:11], v6
	v_mul_f64 v[8:9], v[8:9], s[8:9]
	v_mul_f64 v[10:11], v[10:11], s[8:9]
	v_and_or_b32 v6, 0x1ff, v9, v8
	v_and_or_b32 v10, 0x1ff, v11, v10
	v_lshrrev_b32_e32 v8, 8, v9
	v_bfe_u32 v12, v9, 20, 11
	v_lshrrev_b32_e32 v13, 8, v11
	v_cmp_ne_u32_e32 vcc_lo, 0, v6
	v_bfe_u32 v14, v11, 20, 11
	v_lshrrev_b32_e32 v9, 16, v9
	v_sub_nc_u32_e32 v15, 0x3f1, v12
	v_add_nc_u32_e32 v12, 0xfffffc10, v12
	v_cndmask_b32_e64 v6, 0, 1, vcc_lo
	v_cmp_ne_u32_e32 vcc_lo, 0, v10
	v_lshrrev_b32_e32 v11, 16, v11
	v_and_or_b32 v6, 0xffe, v8, v6
	v_cndmask_b32_e64 v10, 0, 1, vcc_lo
	v_sub_nc_u32_e32 v8, 0x3f1, v14
	v_add_nc_u32_e32 v14, 0xfffffc10, v14
	v_and_or_b32 v10, 0xffe, v13, v10
	v_med3_i32 v13, v15, 0, 13
	v_or_b32_e32 v15, 0x1000, v6
	v_med3_i32 v8, v8, 0, 13
	v_or_b32_e32 v16, 0x1000, v10
	v_lshrrev_b32_e32 v17, v13, v15
	v_lshrrev_b32_e32 v18, v8, v16
	v_lshlrev_b32_e32 v13, v13, v17
	v_lshlrev_b32_e32 v8, v8, v18
	v_cmp_ne_u32_e32 vcc_lo, v13, v15
	v_lshl_or_b32 v15, v12, 12, v6
	v_cndmask_b32_e64 v13, 0, 1, vcc_lo
	v_cmp_ne_u32_e32 vcc_lo, v8, v16
	v_lshl_or_b32 v16, v14, 12, v10
	v_or_b32_e32 v13, v17, v13
	v_cndmask_b32_e64 v8, 0, 1, vcc_lo
	v_cmp_gt_i32_e32 vcc_lo, 1, v12
	v_or_b32_e32 v8, v18, v8
	v_cndmask_b32_e32 v13, v15, v13, vcc_lo
	v_cmp_gt_i32_e32 vcc_lo, 1, v14
	v_and_b32_e32 v15, 7, v13
	v_cndmask_b32_e32 v8, v16, v8, vcc_lo
	v_cmp_ne_u32_e32 vcc_lo, 0, v6
	v_lshrrev_b32_e32 v13, 2, v13
	v_cmp_eq_u32_e64 s0, 3, v15
	v_and_b32_e32 v16, 7, v8
	v_cndmask_b32_e64 v6, 0, 1, vcc_lo
	v_cmp_ne_u32_e32 vcc_lo, 0, v10
	v_lshrrev_b32_e32 v8, 2, v8
	v_cmp_lt_i32_e64 s1, 5, v16
	v_cmp_eq_u32_e64 s2, 3, v16
	v_cndmask_b32_e64 v10, 0, 1, vcc_lo
	v_cmp_lt_i32_e32 vcc_lo, 5, v15
	v_lshl_or_b32 v6, v6, 9, 0x7c00
	v_lshl_or_b32 v10, v10, 9, 0x7c00
	s_or_b32 vcc_lo, s0, vcc_lo
	v_add_co_ci_u32_e32 v13, vcc_lo, 0, v13, vcc_lo
	s_or_b32 vcc_lo, s2, s1
	v_add_co_ci_u32_e32 v8, vcc_lo, 0, v8, vcc_lo
	v_cmp_gt_i32_e32 vcc_lo, 31, v12
	v_cndmask_b32_e32 v13, 0x7c00, v13, vcc_lo
	v_cmp_gt_i32_e32 vcc_lo, 31, v14
	v_cndmask_b32_e32 v8, 0x7c00, v8, vcc_lo
	v_cmp_eq_u32_e32 vcc_lo, 0x40f, v12
	v_cndmask_b32_e32 v6, v13, v6, vcc_lo
	v_cmp_eq_u32_e32 vcc_lo, 0x40f, v14
	v_and_or_b32 v6, 0x8000, v9, v6
	v_cndmask_b32_e32 v8, v8, v10, vcc_lo
	v_add_co_u32 v0, vcc_lo, v0, s4
	v_add_co_ci_u32_e32 v1, vcc_lo, s3, v1, vcc_lo
	v_and_or_b32 v8, 0x8000, v11, v8
	v_and_b32_e32 v6, 0xffff, v6
	v_lshl_or_b32 v6, v8, 16, v6
	global_store_dword v[0:1], v6, off
	global_load_dword v4, v[4:5], off offset:1696
	v_lshrrev_b32_e32 v5, 16, v7
	s_waitcnt vmcnt(0)
	v_mul_f16_sdwa v6, v5, v4 dst_sel:DWORD dst_unused:UNUSED_PAD src0_sel:DWORD src1_sel:WORD_1
	v_mul_f16_sdwa v8, v7, v4 dst_sel:DWORD dst_unused:UNUSED_PAD src0_sel:DWORD src1_sel:WORD_1
	v_fmac_f16_e32 v6, v7, v4
	v_fma_f16 v4, v4, v5, -v8
	v_cvt_f32_f16_e32 v5, v6
	v_cvt_f32_f16_e32 v6, v4
	v_cvt_f64_f32_e32 v[4:5], v5
	v_cvt_f64_f32_e32 v[6:7], v6
	v_mul_f64 v[4:5], v[4:5], s[8:9]
	v_mul_f64 v[6:7], v[6:7], s[8:9]
	v_and_or_b32 v4, 0x1ff, v5, v4
	v_and_or_b32 v6, 0x1ff, v7, v6
	v_lshrrev_b32_e32 v8, 8, v5
	v_bfe_u32 v9, v5, 20, 11
	v_lshrrev_b32_e32 v10, 8, v7
	v_cmp_ne_u32_e32 vcc_lo, 0, v4
	v_bfe_u32 v11, v7, 20, 11
	v_lshrrev_b32_e32 v5, 16, v5
	v_sub_nc_u32_e32 v12, 0x3f1, v9
	v_add_nc_u32_e32 v9, 0xfffffc10, v9
	v_cndmask_b32_e64 v4, 0, 1, vcc_lo
	v_cmp_ne_u32_e32 vcc_lo, 0, v6
	v_lshrrev_b32_e32 v7, 16, v7
	v_and_or_b32 v4, 0xffe, v8, v4
	v_cndmask_b32_e64 v6, 0, 1, vcc_lo
	v_sub_nc_u32_e32 v8, 0x3f1, v11
	v_add_nc_u32_e32 v11, 0xfffffc10, v11
	v_and_or_b32 v6, 0xffe, v10, v6
	v_med3_i32 v10, v12, 0, 13
	v_or_b32_e32 v12, 0x1000, v4
	v_med3_i32 v8, v8, 0, 13
	v_or_b32_e32 v13, 0x1000, v6
	v_lshrrev_b32_e32 v14, v10, v12
	v_lshrrev_b32_e32 v15, v8, v13
	v_lshlrev_b32_e32 v10, v10, v14
	v_lshlrev_b32_e32 v8, v8, v15
	v_cmp_ne_u32_e32 vcc_lo, v10, v12
	v_lshl_or_b32 v12, v9, 12, v4
	v_cndmask_b32_e64 v10, 0, 1, vcc_lo
	v_cmp_ne_u32_e32 vcc_lo, v8, v13
	v_lshl_or_b32 v13, v11, 12, v6
	v_or_b32_e32 v10, v14, v10
	v_cndmask_b32_e64 v8, 0, 1, vcc_lo
	v_cmp_gt_i32_e32 vcc_lo, 1, v9
	v_or_b32_e32 v8, v15, v8
	v_cndmask_b32_e32 v10, v12, v10, vcc_lo
	v_cmp_gt_i32_e32 vcc_lo, 1, v11
	v_and_b32_e32 v12, 7, v10
	v_cndmask_b32_e32 v8, v13, v8, vcc_lo
	v_cmp_ne_u32_e32 vcc_lo, 0, v4
	v_lshrrev_b32_e32 v10, 2, v10
	v_cmp_eq_u32_e64 s0, 3, v12
	v_and_b32_e32 v13, 7, v8
	v_cndmask_b32_e64 v4, 0, 1, vcc_lo
	v_cmp_ne_u32_e32 vcc_lo, 0, v6
	v_lshrrev_b32_e32 v8, 2, v8
	v_cmp_lt_i32_e64 s1, 5, v13
	v_cmp_eq_u32_e64 s2, 3, v13
	v_cndmask_b32_e64 v6, 0, 1, vcc_lo
	v_cmp_lt_i32_e32 vcc_lo, 5, v12
	v_lshl_or_b32 v4, v4, 9, 0x7c00
	v_lshl_or_b32 v6, v6, 9, 0x7c00
	s_or_b32 vcc_lo, s0, vcc_lo
	v_add_co_ci_u32_e32 v10, vcc_lo, 0, v10, vcc_lo
	s_or_b32 vcc_lo, s2, s1
	v_add_co_ci_u32_e32 v8, vcc_lo, 0, v8, vcc_lo
	v_cmp_gt_i32_e32 vcc_lo, 31, v9
	v_cndmask_b32_e32 v10, 0x7c00, v10, vcc_lo
	v_cmp_gt_i32_e32 vcc_lo, 31, v11
	v_cndmask_b32_e32 v8, 0x7c00, v8, vcc_lo
	v_cmp_eq_u32_e32 vcc_lo, 0x40f, v9
	v_cndmask_b32_e32 v4, v10, v4, vcc_lo
	v_cmp_eq_u32_e32 vcc_lo, 0x40f, v11
	v_and_or_b32 v4, 0x8000, v5, v4
	v_cndmask_b32_e32 v6, v8, v6, vcc_lo
	v_and_or_b32 v6, 0x8000, v7, v6
	v_and_b32_e32 v7, 0xffff, v4
	v_add_co_u32 v4, vcc_lo, v0, s4
	v_add_co_ci_u32_e32 v5, vcc_lo, s3, v1, vcc_lo
	v_add_co_u32 v0, vcc_lo, 0x1000, v2
	v_lshl_or_b32 v6, v6, 16, v7
	v_add_co_ci_u32_e32 v1, vcc_lo, 0, v3, vcc_lo
	global_store_dword v[4:5], v6, off
	global_load_dword v8, v[0:1], off offset:116
	v_add_nc_u32_e32 v6, 0x1000, v49
	ds_read2_b32 v[6:7], v6 offset0:29 offset1:146
	s_waitcnt lgkmcnt(0)
	v_lshrrev_b32_e32 v9, 16, v6
	s_waitcnt vmcnt(0)
	v_mul_f16_sdwa v10, v9, v8 dst_sel:DWORD dst_unused:UNUSED_PAD src0_sel:DWORD src1_sel:WORD_1
	v_mul_f16_sdwa v11, v6, v8 dst_sel:DWORD dst_unused:UNUSED_PAD src0_sel:DWORD src1_sel:WORD_1
	v_fmac_f16_e32 v10, v6, v8
	v_fma_f16 v6, v8, v9, -v11
	v_cvt_f32_f16_e32 v8, v10
	v_cvt_f32_f16_e32 v6, v6
	v_cvt_f64_f32_e32 v[8:9], v8
	v_cvt_f64_f32_e32 v[10:11], v6
	v_mul_f64 v[8:9], v[8:9], s[8:9]
	v_mul_f64 v[10:11], v[10:11], s[8:9]
	v_and_or_b32 v6, 0x1ff, v9, v8
	v_and_or_b32 v10, 0x1ff, v11, v10
	v_lshrrev_b32_e32 v8, 8, v9
	v_bfe_u32 v12, v9, 20, 11
	v_lshrrev_b32_e32 v13, 8, v11
	v_cmp_ne_u32_e32 vcc_lo, 0, v6
	v_bfe_u32 v14, v11, 20, 11
	v_lshrrev_b32_e32 v9, 16, v9
	v_sub_nc_u32_e32 v15, 0x3f1, v12
	v_add_nc_u32_e32 v12, 0xfffffc10, v12
	v_cndmask_b32_e64 v6, 0, 1, vcc_lo
	v_cmp_ne_u32_e32 vcc_lo, 0, v10
	v_lshrrev_b32_e32 v11, 16, v11
	v_and_or_b32 v6, 0xffe, v8, v6
	v_cndmask_b32_e64 v10, 0, 1, vcc_lo
	v_sub_nc_u32_e32 v8, 0x3f1, v14
	v_add_nc_u32_e32 v14, 0xfffffc10, v14
	v_and_or_b32 v10, 0xffe, v13, v10
	v_med3_i32 v13, v15, 0, 13
	v_or_b32_e32 v15, 0x1000, v6
	v_med3_i32 v8, v8, 0, 13
	v_or_b32_e32 v16, 0x1000, v10
	v_lshrrev_b32_e32 v17, v13, v15
	v_lshrrev_b32_e32 v18, v8, v16
	v_lshlrev_b32_e32 v13, v13, v17
	v_lshlrev_b32_e32 v8, v8, v18
	v_cmp_ne_u32_e32 vcc_lo, v13, v15
	v_lshl_or_b32 v15, v12, 12, v6
	v_cndmask_b32_e64 v13, 0, 1, vcc_lo
	v_cmp_ne_u32_e32 vcc_lo, v8, v16
	v_lshl_or_b32 v16, v14, 12, v10
	v_or_b32_e32 v13, v17, v13
	v_cndmask_b32_e64 v8, 0, 1, vcc_lo
	v_cmp_gt_i32_e32 vcc_lo, 1, v12
	v_or_b32_e32 v8, v18, v8
	v_cndmask_b32_e32 v13, v15, v13, vcc_lo
	v_cmp_gt_i32_e32 vcc_lo, 1, v14
	v_and_b32_e32 v15, 7, v13
	v_cndmask_b32_e32 v8, v16, v8, vcc_lo
	v_cmp_ne_u32_e32 vcc_lo, 0, v6
	v_lshrrev_b32_e32 v13, 2, v13
	v_cmp_eq_u32_e64 s0, 3, v15
	v_and_b32_e32 v16, 7, v8
	v_cndmask_b32_e64 v6, 0, 1, vcc_lo
	v_cmp_ne_u32_e32 vcc_lo, 0, v10
	v_lshrrev_b32_e32 v8, 2, v8
	v_cmp_lt_i32_e64 s1, 5, v16
	v_cmp_eq_u32_e64 s2, 3, v16
	v_cndmask_b32_e64 v10, 0, 1, vcc_lo
	v_cmp_lt_i32_e32 vcc_lo, 5, v15
	v_lshl_or_b32 v6, v6, 9, 0x7c00
	v_lshl_or_b32 v10, v10, 9, 0x7c00
	s_or_b32 vcc_lo, s0, vcc_lo
	v_add_co_ci_u32_e32 v13, vcc_lo, 0, v13, vcc_lo
	s_or_b32 vcc_lo, s2, s1
	v_add_co_ci_u32_e32 v8, vcc_lo, 0, v8, vcc_lo
	v_cmp_gt_i32_e32 vcc_lo, 31, v12
	v_cndmask_b32_e32 v13, 0x7c00, v13, vcc_lo
	v_cmp_gt_i32_e32 vcc_lo, 31, v14
	v_cndmask_b32_e32 v8, 0x7c00, v8, vcc_lo
	v_cmp_eq_u32_e32 vcc_lo, 0x40f, v12
	v_cndmask_b32_e32 v6, v13, v6, vcc_lo
	v_cmp_eq_u32_e32 vcc_lo, 0x40f, v14
	v_and_or_b32 v6, 0x8000, v9, v6
	v_cndmask_b32_e32 v8, v8, v10, vcc_lo
	v_add_co_u32 v4, vcc_lo, v4, s4
	v_add_co_ci_u32_e32 v5, vcc_lo, s3, v5, vcc_lo
	v_and_or_b32 v8, 0x8000, v11, v8
	v_and_b32_e32 v6, 0xffff, v6
	v_lshl_or_b32 v6, v8, 16, v6
	v_lshrrev_b32_e32 v8, 16, v7
	global_store_dword v[4:5], v6, off
	global_load_dword v6, v[0:1], off offset:584
	s_waitcnt vmcnt(0)
	v_mul_f16_sdwa v9, v8, v6 dst_sel:DWORD dst_unused:UNUSED_PAD src0_sel:DWORD src1_sel:WORD_1
	v_mul_f16_sdwa v10, v7, v6 dst_sel:DWORD dst_unused:UNUSED_PAD src0_sel:DWORD src1_sel:WORD_1
	v_fmac_f16_e32 v9, v7, v6
	v_fma_f16 v6, v6, v8, -v10
	v_cvt_f32_f16_e32 v7, v9
	v_cvt_f32_f16_e32 v8, v6
	v_cvt_f64_f32_e32 v[6:7], v7
	v_cvt_f64_f32_e32 v[8:9], v8
	v_mul_f64 v[6:7], v[6:7], s[8:9]
	v_mul_f64 v[8:9], v[8:9], s[8:9]
	v_and_or_b32 v6, 0x1ff, v7, v6
	v_and_or_b32 v8, 0x1ff, v9, v8
	v_lshrrev_b32_e32 v10, 8, v7
	v_bfe_u32 v11, v7, 20, 11
	v_lshrrev_b32_e32 v12, 8, v9
	v_cmp_ne_u32_e32 vcc_lo, 0, v6
	v_bfe_u32 v13, v9, 20, 11
	v_lshrrev_b32_e32 v7, 16, v7
	v_sub_nc_u32_e32 v14, 0x3f1, v11
	v_add_nc_u32_e32 v11, 0xfffffc10, v11
	v_cndmask_b32_e64 v6, 0, 1, vcc_lo
	v_cmp_ne_u32_e32 vcc_lo, 0, v8
	v_lshrrev_b32_e32 v9, 16, v9
	v_and_or_b32 v6, 0xffe, v10, v6
	v_cndmask_b32_e64 v8, 0, 1, vcc_lo
	v_sub_nc_u32_e32 v10, 0x3f1, v13
	v_add_nc_u32_e32 v13, 0xfffffc10, v13
	v_and_or_b32 v8, 0xffe, v12, v8
	v_med3_i32 v12, v14, 0, 13
	v_or_b32_e32 v14, 0x1000, v6
	v_med3_i32 v10, v10, 0, 13
	v_or_b32_e32 v15, 0x1000, v8
	v_lshrrev_b32_e32 v16, v12, v14
	v_lshrrev_b32_e32 v17, v10, v15
	v_lshlrev_b32_e32 v12, v12, v16
	v_lshlrev_b32_e32 v10, v10, v17
	v_cmp_ne_u32_e32 vcc_lo, v12, v14
	v_lshl_or_b32 v14, v11, 12, v6
	v_cndmask_b32_e64 v12, 0, 1, vcc_lo
	v_cmp_ne_u32_e32 vcc_lo, v10, v15
	v_lshl_or_b32 v15, v13, 12, v8
	v_or_b32_e32 v12, v16, v12
	v_cndmask_b32_e64 v10, 0, 1, vcc_lo
	v_cmp_gt_i32_e32 vcc_lo, 1, v11
	v_or_b32_e32 v10, v17, v10
	v_cndmask_b32_e32 v12, v14, v12, vcc_lo
	v_cmp_gt_i32_e32 vcc_lo, 1, v13
	v_and_b32_e32 v14, 7, v12
	v_cndmask_b32_e32 v10, v15, v10, vcc_lo
	v_cmp_ne_u32_e32 vcc_lo, 0, v6
	v_lshrrev_b32_e32 v12, 2, v12
	v_cmp_eq_u32_e64 s0, 3, v14
	v_and_b32_e32 v15, 7, v10
	v_cndmask_b32_e64 v6, 0, 1, vcc_lo
	v_cmp_ne_u32_e32 vcc_lo, 0, v8
	v_lshrrev_b32_e32 v10, 2, v10
	v_cmp_lt_i32_e64 s1, 5, v15
	v_cmp_eq_u32_e64 s2, 3, v15
	v_cndmask_b32_e64 v8, 0, 1, vcc_lo
	v_cmp_lt_i32_e32 vcc_lo, 5, v14
	v_lshl_or_b32 v6, v6, 9, 0x7c00
	v_lshl_or_b32 v8, v8, 9, 0x7c00
	s_or_b32 vcc_lo, s0, vcc_lo
	v_add_co_ci_u32_e32 v12, vcc_lo, 0, v12, vcc_lo
	s_or_b32 vcc_lo, s2, s1
	v_add_co_ci_u32_e32 v10, vcc_lo, 0, v10, vcc_lo
	v_cmp_gt_i32_e32 vcc_lo, 31, v11
	v_cndmask_b32_e32 v12, 0x7c00, v12, vcc_lo
	v_cmp_gt_i32_e32 vcc_lo, 31, v13
	v_cndmask_b32_e32 v10, 0x7c00, v10, vcc_lo
	v_cmp_eq_u32_e32 vcc_lo, 0x40f, v11
	v_cndmask_b32_e32 v6, v12, v6, vcc_lo
	v_cmp_eq_u32_e32 vcc_lo, 0x40f, v13
	v_and_or_b32 v6, 0x8000, v7, v6
	v_cndmask_b32_e32 v8, v10, v8, vcc_lo
	v_add_co_u32 v4, vcc_lo, v4, s4
	v_add_co_ci_u32_e32 v5, vcc_lo, s3, v5, vcc_lo
	v_and_or_b32 v7, 0x8000, v9, v8
	v_and_b32_e32 v6, 0xffff, v6
	v_lshl_or_b32 v6, v7, 16, v6
	global_store_dword v[4:5], v6, off
	global_load_dword v8, v[0:1], off offset:1052
	v_add_nc_u32_e32 v6, 0x1400, v49
	ds_read2_b32 v[6:7], v6 offset0:7 offset1:124
	s_waitcnt lgkmcnt(0)
	v_lshrrev_b32_e32 v9, 16, v6
	s_waitcnt vmcnt(0)
	v_mul_f16_sdwa v10, v9, v8 dst_sel:DWORD dst_unused:UNUSED_PAD src0_sel:DWORD src1_sel:WORD_1
	v_mul_f16_sdwa v11, v6, v8 dst_sel:DWORD dst_unused:UNUSED_PAD src0_sel:DWORD src1_sel:WORD_1
	v_fmac_f16_e32 v10, v6, v8
	v_fma_f16 v6, v8, v9, -v11
	v_cvt_f32_f16_e32 v8, v10
	v_cvt_f32_f16_e32 v6, v6
	v_cvt_f64_f32_e32 v[8:9], v8
	v_cvt_f64_f32_e32 v[10:11], v6
	v_mul_f64 v[8:9], v[8:9], s[8:9]
	v_mul_f64 v[10:11], v[10:11], s[8:9]
	v_and_or_b32 v6, 0x1ff, v9, v8
	v_and_or_b32 v10, 0x1ff, v11, v10
	v_lshrrev_b32_e32 v8, 8, v9
	v_bfe_u32 v12, v9, 20, 11
	v_lshrrev_b32_e32 v13, 8, v11
	v_cmp_ne_u32_e32 vcc_lo, 0, v6
	v_bfe_u32 v14, v11, 20, 11
	v_lshrrev_b32_e32 v9, 16, v9
	v_sub_nc_u32_e32 v15, 0x3f1, v12
	v_add_nc_u32_e32 v12, 0xfffffc10, v12
	v_cndmask_b32_e64 v6, 0, 1, vcc_lo
	v_cmp_ne_u32_e32 vcc_lo, 0, v10
	v_lshrrev_b32_e32 v11, 16, v11
	v_and_or_b32 v6, 0xffe, v8, v6
	v_cndmask_b32_e64 v10, 0, 1, vcc_lo
	v_sub_nc_u32_e32 v8, 0x3f1, v14
	v_add_nc_u32_e32 v14, 0xfffffc10, v14
	v_and_or_b32 v10, 0xffe, v13, v10
	v_med3_i32 v13, v15, 0, 13
	v_or_b32_e32 v15, 0x1000, v6
	v_med3_i32 v8, v8, 0, 13
	v_or_b32_e32 v16, 0x1000, v10
	v_lshrrev_b32_e32 v17, v13, v15
	v_lshrrev_b32_e32 v18, v8, v16
	v_lshlrev_b32_e32 v13, v13, v17
	v_lshlrev_b32_e32 v8, v8, v18
	v_cmp_ne_u32_e32 vcc_lo, v13, v15
	v_lshl_or_b32 v15, v12, 12, v6
	v_cndmask_b32_e64 v13, 0, 1, vcc_lo
	v_cmp_ne_u32_e32 vcc_lo, v8, v16
	v_lshl_or_b32 v16, v14, 12, v10
	v_or_b32_e32 v13, v17, v13
	v_cndmask_b32_e64 v8, 0, 1, vcc_lo
	v_cmp_gt_i32_e32 vcc_lo, 1, v12
	v_or_b32_e32 v8, v18, v8
	v_cndmask_b32_e32 v13, v15, v13, vcc_lo
	v_cmp_gt_i32_e32 vcc_lo, 1, v14
	v_and_b32_e32 v15, 7, v13
	v_cndmask_b32_e32 v8, v16, v8, vcc_lo
	v_cmp_ne_u32_e32 vcc_lo, 0, v6
	v_lshrrev_b32_e32 v13, 2, v13
	v_cmp_eq_u32_e64 s0, 3, v15
	v_and_b32_e32 v16, 7, v8
	v_cndmask_b32_e64 v6, 0, 1, vcc_lo
	v_cmp_ne_u32_e32 vcc_lo, 0, v10
	v_lshrrev_b32_e32 v8, 2, v8
	v_cmp_lt_i32_e64 s1, 5, v16
	v_cmp_eq_u32_e64 s2, 3, v16
	v_cndmask_b32_e64 v10, 0, 1, vcc_lo
	v_cmp_lt_i32_e32 vcc_lo, 5, v15
	v_lshl_or_b32 v6, v6, 9, 0x7c00
	v_lshl_or_b32 v10, v10, 9, 0x7c00
	s_or_b32 vcc_lo, s0, vcc_lo
	v_add_co_ci_u32_e32 v13, vcc_lo, 0, v13, vcc_lo
	s_or_b32 vcc_lo, s2, s1
	v_add_co_ci_u32_e32 v8, vcc_lo, 0, v8, vcc_lo
	v_cmp_gt_i32_e32 vcc_lo, 31, v12
	v_cndmask_b32_e32 v13, 0x7c00, v13, vcc_lo
	v_cmp_gt_i32_e32 vcc_lo, 31, v14
	v_cndmask_b32_e32 v8, 0x7c00, v8, vcc_lo
	v_cmp_eq_u32_e32 vcc_lo, 0x40f, v12
	v_cndmask_b32_e32 v6, v13, v6, vcc_lo
	v_cmp_eq_u32_e32 vcc_lo, 0x40f, v14
	v_and_or_b32 v6, 0x8000, v9, v6
	v_cndmask_b32_e32 v8, v8, v10, vcc_lo
	v_add_co_u32 v4, vcc_lo, v4, s4
	v_add_co_ci_u32_e32 v5, vcc_lo, s3, v5, vcc_lo
	v_and_or_b32 v8, 0x8000, v11, v8
	v_and_b32_e32 v6, 0xffff, v6
	v_lshl_or_b32 v6, v8, 16, v6
	v_lshrrev_b32_e32 v8, 16, v7
	global_store_dword v[4:5], v6, off
	global_load_dword v6, v[0:1], off offset:1520
	s_waitcnt vmcnt(0)
	v_mul_f16_sdwa v9, v8, v6 dst_sel:DWORD dst_unused:UNUSED_PAD src0_sel:DWORD src1_sel:WORD_1
	v_mul_f16_sdwa v10, v7, v6 dst_sel:DWORD dst_unused:UNUSED_PAD src0_sel:DWORD src1_sel:WORD_1
	v_fmac_f16_e32 v9, v7, v6
	v_fma_f16 v6, v6, v8, -v10
	v_cvt_f32_f16_e32 v7, v9
	v_cvt_f32_f16_e32 v8, v6
	v_cvt_f64_f32_e32 v[6:7], v7
	v_cvt_f64_f32_e32 v[8:9], v8
	v_mul_f64 v[6:7], v[6:7], s[8:9]
	v_mul_f64 v[8:9], v[8:9], s[8:9]
	v_and_or_b32 v6, 0x1ff, v7, v6
	v_and_or_b32 v8, 0x1ff, v9, v8
	v_lshrrev_b32_e32 v10, 8, v7
	v_bfe_u32 v11, v7, 20, 11
	v_lshrrev_b32_e32 v12, 8, v9
	v_cmp_ne_u32_e32 vcc_lo, 0, v6
	v_bfe_u32 v13, v9, 20, 11
	v_lshrrev_b32_e32 v7, 16, v7
	v_sub_nc_u32_e32 v14, 0x3f1, v11
	v_add_nc_u32_e32 v11, 0xfffffc10, v11
	v_cndmask_b32_e64 v6, 0, 1, vcc_lo
	v_cmp_ne_u32_e32 vcc_lo, 0, v8
	v_lshrrev_b32_e32 v9, 16, v9
	v_and_or_b32 v6, 0xffe, v10, v6
	v_cndmask_b32_e64 v8, 0, 1, vcc_lo
	v_sub_nc_u32_e32 v10, 0x3f1, v13
	v_add_nc_u32_e32 v13, 0xfffffc10, v13
	v_and_or_b32 v8, 0xffe, v12, v8
	v_med3_i32 v12, v14, 0, 13
	v_or_b32_e32 v14, 0x1000, v6
	v_med3_i32 v10, v10, 0, 13
	v_or_b32_e32 v15, 0x1000, v8
	v_lshrrev_b32_e32 v16, v12, v14
	v_lshrrev_b32_e32 v17, v10, v15
	v_lshlrev_b32_e32 v12, v12, v16
	v_lshlrev_b32_e32 v10, v10, v17
	v_cmp_ne_u32_e32 vcc_lo, v12, v14
	v_lshl_or_b32 v14, v11, 12, v6
	v_cndmask_b32_e64 v12, 0, 1, vcc_lo
	v_cmp_ne_u32_e32 vcc_lo, v10, v15
	v_lshl_or_b32 v15, v13, 12, v8
	v_or_b32_e32 v12, v16, v12
	v_cndmask_b32_e64 v10, 0, 1, vcc_lo
	v_cmp_gt_i32_e32 vcc_lo, 1, v11
	v_or_b32_e32 v10, v17, v10
	v_cndmask_b32_e32 v12, v14, v12, vcc_lo
	v_cmp_gt_i32_e32 vcc_lo, 1, v13
	v_and_b32_e32 v14, 7, v12
	v_cndmask_b32_e32 v10, v15, v10, vcc_lo
	v_cmp_ne_u32_e32 vcc_lo, 0, v6
	v_lshrrev_b32_e32 v12, 2, v12
	v_cmp_eq_u32_e64 s0, 3, v14
	v_and_b32_e32 v15, 7, v10
	v_cndmask_b32_e64 v6, 0, 1, vcc_lo
	v_cmp_ne_u32_e32 vcc_lo, 0, v8
	v_lshrrev_b32_e32 v10, 2, v10
	v_cmp_lt_i32_e64 s1, 5, v15
	v_cmp_eq_u32_e64 s2, 3, v15
	v_cndmask_b32_e64 v8, 0, 1, vcc_lo
	v_cmp_lt_i32_e32 vcc_lo, 5, v14
	v_lshl_or_b32 v6, v6, 9, 0x7c00
	v_lshl_or_b32 v8, v8, 9, 0x7c00
	s_or_b32 vcc_lo, s0, vcc_lo
	v_add_co_ci_u32_e32 v12, vcc_lo, 0, v12, vcc_lo
	s_or_b32 vcc_lo, s2, s1
	v_add_co_ci_u32_e32 v10, vcc_lo, 0, v10, vcc_lo
	v_cmp_gt_i32_e32 vcc_lo, 31, v11
	v_cndmask_b32_e32 v12, 0x7c00, v12, vcc_lo
	v_cmp_gt_i32_e32 vcc_lo, 31, v13
	v_cndmask_b32_e32 v10, 0x7c00, v10, vcc_lo
	v_cmp_eq_u32_e32 vcc_lo, 0x40f, v11
	v_cndmask_b32_e32 v6, v12, v6, vcc_lo
	v_cmp_eq_u32_e32 vcc_lo, 0x40f, v13
	v_and_or_b32 v6, 0x8000, v7, v6
	v_cndmask_b32_e32 v8, v10, v8, vcc_lo
	v_add_co_u32 v4, vcc_lo, v4, s4
	v_add_co_ci_u32_e32 v5, vcc_lo, s3, v5, vcc_lo
	v_and_or_b32 v7, 0x8000, v9, v8
	v_and_b32_e32 v6, 0xffff, v6
	v_lshl_or_b32 v6, v7, 16, v6
	global_store_dword v[4:5], v6, off
	global_load_dword v6, v[0:1], off offset:1988
	v_add_nc_u32_e32 v0, 0x1600, v49
	ds_read2_b32 v[0:1], v0 offset0:113 offset1:230
	s_waitcnt lgkmcnt(0)
	v_lshrrev_b32_e32 v7, 16, v0
	s_waitcnt vmcnt(0)
	v_mul_f16_sdwa v8, v7, v6 dst_sel:DWORD dst_unused:UNUSED_PAD src0_sel:DWORD src1_sel:WORD_1
	v_mul_f16_sdwa v9, v0, v6 dst_sel:DWORD dst_unused:UNUSED_PAD src0_sel:DWORD src1_sel:WORD_1
	v_fmac_f16_e32 v8, v0, v6
	v_fma_f16 v0, v6, v7, -v9
	v_cvt_f32_f16_e32 v6, v8
	v_cvt_f32_f16_e32 v0, v0
	v_cvt_f64_f32_e32 v[6:7], v6
	v_cvt_f64_f32_e32 v[8:9], v0
	v_mul_f64 v[6:7], v[6:7], s[8:9]
	v_mul_f64 v[8:9], v[8:9], s[8:9]
	v_and_or_b32 v0, 0x1ff, v7, v6
	v_and_or_b32 v8, 0x1ff, v9, v8
	v_lshrrev_b32_e32 v6, 8, v7
	v_bfe_u32 v10, v7, 20, 11
	v_lshrrev_b32_e32 v11, 8, v9
	v_cmp_ne_u32_e32 vcc_lo, 0, v0
	v_bfe_u32 v12, v9, 20, 11
	v_lshrrev_b32_e32 v7, 16, v7
	v_sub_nc_u32_e32 v13, 0x3f1, v10
	v_add_nc_u32_e32 v10, 0xfffffc10, v10
	v_cndmask_b32_e64 v0, 0, 1, vcc_lo
	v_cmp_ne_u32_e32 vcc_lo, 0, v8
	v_lshrrev_b32_e32 v9, 16, v9
	v_and_or_b32 v0, 0xffe, v6, v0
	v_cndmask_b32_e64 v8, 0, 1, vcc_lo
	v_sub_nc_u32_e32 v6, 0x3f1, v12
	v_add_nc_u32_e32 v12, 0xfffffc10, v12
	v_and_or_b32 v8, 0xffe, v11, v8
	v_med3_i32 v11, v13, 0, 13
	v_or_b32_e32 v13, 0x1000, v0
	v_med3_i32 v6, v6, 0, 13
	v_or_b32_e32 v14, 0x1000, v8
	v_lshrrev_b32_e32 v15, v11, v13
	v_lshrrev_b32_e32 v16, v6, v14
	v_lshlrev_b32_e32 v11, v11, v15
	v_lshlrev_b32_e32 v6, v6, v16
	v_cmp_ne_u32_e32 vcc_lo, v11, v13
	v_lshl_or_b32 v13, v10, 12, v0
	v_cndmask_b32_e64 v11, 0, 1, vcc_lo
	v_cmp_ne_u32_e32 vcc_lo, v6, v14
	v_lshl_or_b32 v14, v12, 12, v8
	v_or_b32_e32 v11, v15, v11
	v_cndmask_b32_e64 v6, 0, 1, vcc_lo
	v_cmp_gt_i32_e32 vcc_lo, 1, v10
	v_or_b32_e32 v6, v16, v6
	v_cndmask_b32_e32 v11, v13, v11, vcc_lo
	v_cmp_gt_i32_e32 vcc_lo, 1, v12
	v_and_b32_e32 v13, 7, v11
	v_cndmask_b32_e32 v6, v14, v6, vcc_lo
	v_cmp_ne_u32_e32 vcc_lo, 0, v0
	v_lshrrev_b32_e32 v11, 2, v11
	v_cmp_eq_u32_e64 s0, 3, v13
	v_and_b32_e32 v14, 7, v6
	v_cndmask_b32_e64 v0, 0, 1, vcc_lo
	v_cmp_ne_u32_e32 vcc_lo, 0, v8
	v_lshrrev_b32_e32 v6, 2, v6
	v_cmp_lt_i32_e64 s1, 5, v14
	v_cmp_eq_u32_e64 s2, 3, v14
	v_cndmask_b32_e64 v8, 0, 1, vcc_lo
	v_cmp_lt_i32_e32 vcc_lo, 5, v13
	v_lshl_or_b32 v0, v0, 9, 0x7c00
	v_lshl_or_b32 v8, v8, 9, 0x7c00
	s_or_b32 vcc_lo, s0, vcc_lo
	v_add_co_ci_u32_e32 v11, vcc_lo, 0, v11, vcc_lo
	s_or_b32 vcc_lo, s2, s1
	v_add_co_ci_u32_e32 v6, vcc_lo, 0, v6, vcc_lo
	v_cmp_gt_i32_e32 vcc_lo, 31, v10
	v_cndmask_b32_e32 v11, 0x7c00, v11, vcc_lo
	v_cmp_gt_i32_e32 vcc_lo, 31, v12
	v_cndmask_b32_e32 v6, 0x7c00, v6, vcc_lo
	v_cmp_eq_u32_e32 vcc_lo, 0x40f, v10
	v_cndmask_b32_e32 v0, v11, v0, vcc_lo
	v_cmp_eq_u32_e32 vcc_lo, 0x40f, v12
	v_and_or_b32 v0, 0x8000, v7, v0
	v_cndmask_b32_e32 v6, v6, v8, vcc_lo
	v_add_co_u32 v4, vcc_lo, v4, s4
	v_add_co_ci_u32_e32 v5, vcc_lo, s3, v5, vcc_lo
	v_and_or_b32 v6, 0x8000, v9, v6
	v_and_b32_e32 v0, 0xffff, v0
	v_add_co_u32 v2, vcc_lo, 0x1800, v2
	v_add_co_ci_u32_e32 v3, vcc_lo, 0, v3, vcc_lo
	v_lshl_or_b32 v0, v6, 16, v0
	v_lshrrev_b32_e32 v6, 16, v1
	global_store_dword v[4:5], v0, off
	global_load_dword v0, v[2:3], off offset:408
	s_waitcnt vmcnt(0)
	v_mul_f16_sdwa v7, v6, v0 dst_sel:DWORD dst_unused:UNUSED_PAD src0_sel:DWORD src1_sel:WORD_1
	v_mul_f16_sdwa v8, v1, v0 dst_sel:DWORD dst_unused:UNUSED_PAD src0_sel:DWORD src1_sel:WORD_1
	v_fmac_f16_e32 v7, v1, v0
	v_fma_f16 v0, v0, v6, -v8
	v_cvt_f32_f16_e32 v1, v7
	v_cvt_f32_f16_e32 v6, v0
	v_cvt_f64_f32_e32 v[0:1], v1
	v_cvt_f64_f32_e32 v[6:7], v6
	v_mul_f64 v[0:1], v[0:1], s[8:9]
	v_mul_f64 v[6:7], v[6:7], s[8:9]
	v_and_or_b32 v0, 0x1ff, v1, v0
	v_and_or_b32 v6, 0x1ff, v7, v6
	v_lshrrev_b32_e32 v8, 8, v1
	v_bfe_u32 v9, v1, 20, 11
	v_lshrrev_b32_e32 v10, 8, v7
	v_cmp_ne_u32_e32 vcc_lo, 0, v0
	v_bfe_u32 v11, v7, 20, 11
	v_lshrrev_b32_e32 v1, 16, v1
	v_sub_nc_u32_e32 v12, 0x3f1, v9
	v_add_nc_u32_e32 v9, 0xfffffc10, v9
	v_cndmask_b32_e64 v0, 0, 1, vcc_lo
	v_cmp_ne_u32_e32 vcc_lo, 0, v6
	v_lshrrev_b32_e32 v7, 16, v7
	v_and_or_b32 v0, 0xffe, v8, v0
	v_cndmask_b32_e64 v6, 0, 1, vcc_lo
	v_sub_nc_u32_e32 v8, 0x3f1, v11
	v_add_nc_u32_e32 v11, 0xfffffc10, v11
	v_and_or_b32 v6, 0xffe, v10, v6
	v_med3_i32 v10, v12, 0, 13
	v_or_b32_e32 v12, 0x1000, v0
	v_med3_i32 v8, v8, 0, 13
	v_or_b32_e32 v13, 0x1000, v6
	v_lshrrev_b32_e32 v14, v10, v12
	v_lshrrev_b32_e32 v15, v8, v13
	v_lshlrev_b32_e32 v10, v10, v14
	v_lshlrev_b32_e32 v8, v8, v15
	v_cmp_ne_u32_e32 vcc_lo, v10, v12
	v_lshl_or_b32 v12, v9, 12, v0
	v_cndmask_b32_e64 v10, 0, 1, vcc_lo
	v_cmp_ne_u32_e32 vcc_lo, v8, v13
	v_lshl_or_b32 v13, v11, 12, v6
	v_or_b32_e32 v10, v14, v10
	v_cndmask_b32_e64 v8, 0, 1, vcc_lo
	v_cmp_gt_i32_e32 vcc_lo, 1, v9
	v_or_b32_e32 v8, v15, v8
	v_cndmask_b32_e32 v10, v12, v10, vcc_lo
	v_cmp_gt_i32_e32 vcc_lo, 1, v11
	v_and_b32_e32 v12, 7, v10
	v_cndmask_b32_e32 v8, v13, v8, vcc_lo
	v_cmp_ne_u32_e32 vcc_lo, 0, v0
	v_lshrrev_b32_e32 v10, 2, v10
	v_cmp_eq_u32_e64 s0, 3, v12
	v_and_b32_e32 v13, 7, v8
	v_cndmask_b32_e64 v0, 0, 1, vcc_lo
	v_cmp_ne_u32_e32 vcc_lo, 0, v6
	v_lshrrev_b32_e32 v8, 2, v8
	v_cmp_lt_i32_e64 s1, 5, v13
	v_cmp_eq_u32_e64 s2, 3, v13
	v_cndmask_b32_e64 v6, 0, 1, vcc_lo
	v_cmp_lt_i32_e32 vcc_lo, 5, v12
	v_lshl_or_b32 v0, v0, 9, 0x7c00
	v_lshl_or_b32 v6, v6, 9, 0x7c00
	s_or_b32 vcc_lo, s0, vcc_lo
	v_add_co_ci_u32_e32 v10, vcc_lo, 0, v10, vcc_lo
	s_or_b32 vcc_lo, s2, s1
	v_add_co_ci_u32_e32 v8, vcc_lo, 0, v8, vcc_lo
	v_cmp_gt_i32_e32 vcc_lo, 31, v9
	v_cndmask_b32_e32 v10, 0x7c00, v10, vcc_lo
	v_cmp_gt_i32_e32 vcc_lo, 31, v11
	v_cndmask_b32_e32 v8, 0x7c00, v8, vcc_lo
	v_cmp_eq_u32_e32 vcc_lo, 0x40f, v9
	v_cndmask_b32_e32 v0, v10, v0, vcc_lo
	v_cmp_eq_u32_e32 vcc_lo, 0x40f, v11
	v_and_or_b32 v0, 0x8000, v1, v0
	v_cndmask_b32_e32 v6, v8, v6, vcc_lo
	v_and_or_b32 v6, 0x8000, v7, v6
	v_and_b32_e32 v7, 0xffff, v0
	v_add_co_u32 v0, vcc_lo, v4, s4
	v_add_co_ci_u32_e32 v1, vcc_lo, s3, v5, vcc_lo
	v_lshl_or_b32 v4, v6, 16, v7
	global_store_dword v[0:1], v4, off
	global_load_dword v6, v[2:3], off offset:876
	v_add_nc_u32_e32 v4, 0x1a00, v49
	ds_read2_b32 v[4:5], v4 offset0:91 offset1:208
	s_waitcnt lgkmcnt(0)
	v_lshrrev_b32_e32 v7, 16, v4
	s_waitcnt vmcnt(0)
	v_mul_f16_sdwa v8, v7, v6 dst_sel:DWORD dst_unused:UNUSED_PAD src0_sel:DWORD src1_sel:WORD_1
	v_mul_f16_sdwa v9, v4, v6 dst_sel:DWORD dst_unused:UNUSED_PAD src0_sel:DWORD src1_sel:WORD_1
	v_fmac_f16_e32 v8, v4, v6
	v_fma_f16 v4, v6, v7, -v9
	v_cvt_f32_f16_e32 v6, v8
	v_cvt_f32_f16_e32 v4, v4
	v_cvt_f64_f32_e32 v[6:7], v6
	v_cvt_f64_f32_e32 v[8:9], v4
	v_mul_f64 v[6:7], v[6:7], s[8:9]
	v_mul_f64 v[8:9], v[8:9], s[8:9]
	v_and_or_b32 v4, 0x1ff, v7, v6
	v_and_or_b32 v8, 0x1ff, v9, v8
	v_lshrrev_b32_e32 v6, 8, v7
	v_bfe_u32 v10, v7, 20, 11
	v_lshrrev_b32_e32 v11, 8, v9
	v_cmp_ne_u32_e32 vcc_lo, 0, v4
	v_bfe_u32 v12, v9, 20, 11
	v_lshrrev_b32_e32 v7, 16, v7
	v_sub_nc_u32_e32 v13, 0x3f1, v10
	v_add_nc_u32_e32 v10, 0xfffffc10, v10
	v_cndmask_b32_e64 v4, 0, 1, vcc_lo
	v_cmp_ne_u32_e32 vcc_lo, 0, v8
	v_lshrrev_b32_e32 v9, 16, v9
	v_and_or_b32 v4, 0xffe, v6, v4
	v_cndmask_b32_e64 v8, 0, 1, vcc_lo
	v_sub_nc_u32_e32 v6, 0x3f1, v12
	v_add_nc_u32_e32 v12, 0xfffffc10, v12
	v_and_or_b32 v8, 0xffe, v11, v8
	v_med3_i32 v11, v13, 0, 13
	v_or_b32_e32 v13, 0x1000, v4
	v_med3_i32 v6, v6, 0, 13
	v_or_b32_e32 v14, 0x1000, v8
	v_lshrrev_b32_e32 v15, v11, v13
	v_lshrrev_b32_e32 v16, v6, v14
	v_lshlrev_b32_e32 v11, v11, v15
	v_lshlrev_b32_e32 v6, v6, v16
	v_cmp_ne_u32_e32 vcc_lo, v11, v13
	v_lshl_or_b32 v13, v10, 12, v4
	v_cndmask_b32_e64 v11, 0, 1, vcc_lo
	v_cmp_ne_u32_e32 vcc_lo, v6, v14
	v_lshl_or_b32 v14, v12, 12, v8
	v_or_b32_e32 v11, v15, v11
	v_cndmask_b32_e64 v6, 0, 1, vcc_lo
	v_cmp_gt_i32_e32 vcc_lo, 1, v10
	v_or_b32_e32 v6, v16, v6
	v_cndmask_b32_e32 v11, v13, v11, vcc_lo
	v_cmp_gt_i32_e32 vcc_lo, 1, v12
	v_and_b32_e32 v13, 7, v11
	v_cndmask_b32_e32 v6, v14, v6, vcc_lo
	v_cmp_ne_u32_e32 vcc_lo, 0, v4
	v_lshrrev_b32_e32 v11, 2, v11
	v_cmp_eq_u32_e64 s0, 3, v13
	v_and_b32_e32 v14, 7, v6
	v_cndmask_b32_e64 v4, 0, 1, vcc_lo
	v_cmp_ne_u32_e32 vcc_lo, 0, v8
	v_lshrrev_b32_e32 v6, 2, v6
	v_cmp_lt_i32_e64 s1, 5, v14
	v_cmp_eq_u32_e64 s2, 3, v14
	v_cndmask_b32_e64 v8, 0, 1, vcc_lo
	v_cmp_lt_i32_e32 vcc_lo, 5, v13
	v_lshl_or_b32 v4, v4, 9, 0x7c00
	v_lshl_or_b32 v8, v8, 9, 0x7c00
	s_or_b32 vcc_lo, s0, vcc_lo
	v_add_co_ci_u32_e32 v11, vcc_lo, 0, v11, vcc_lo
	s_or_b32 vcc_lo, s2, s1
	v_add_co_ci_u32_e32 v6, vcc_lo, 0, v6, vcc_lo
	v_cmp_gt_i32_e32 vcc_lo, 31, v10
	v_cndmask_b32_e32 v11, 0x7c00, v11, vcc_lo
	v_cmp_gt_i32_e32 vcc_lo, 31, v12
	v_cndmask_b32_e32 v6, 0x7c00, v6, vcc_lo
	v_cmp_eq_u32_e32 vcc_lo, 0x40f, v10
	v_cndmask_b32_e32 v4, v11, v4, vcc_lo
	v_cmp_eq_u32_e32 vcc_lo, 0x40f, v12
	v_and_or_b32 v4, 0x8000, v7, v4
	v_cndmask_b32_e32 v6, v6, v8, vcc_lo
	v_add_co_u32 v0, vcc_lo, v0, s4
	v_add_co_ci_u32_e32 v1, vcc_lo, s3, v1, vcc_lo
	v_and_or_b32 v6, 0x8000, v9, v6
	v_and_b32_e32 v4, 0xffff, v4
	v_lshl_or_b32 v4, v6, 16, v4
	global_store_dword v[0:1], v4, off
	global_load_dword v2, v[2:3], off offset:1344
	v_lshrrev_b32_e32 v3, 16, v5
	s_waitcnt vmcnt(0)
	v_mul_f16_sdwa v4, v3, v2 dst_sel:DWORD dst_unused:UNUSED_PAD src0_sel:DWORD src1_sel:WORD_1
	v_mul_f16_sdwa v6, v5, v2 dst_sel:DWORD dst_unused:UNUSED_PAD src0_sel:DWORD src1_sel:WORD_1
	v_fmac_f16_e32 v4, v5, v2
	v_fma_f16 v2, v2, v3, -v6
	v_cvt_f32_f16_e32 v3, v4
	v_cvt_f32_f16_e32 v4, v2
	v_cvt_f64_f32_e32 v[2:3], v3
	v_cvt_f64_f32_e32 v[4:5], v4
	v_mul_f64 v[2:3], v[2:3], s[8:9]
	v_mul_f64 v[4:5], v[4:5], s[8:9]
	v_and_or_b32 v2, 0x1ff, v3, v2
	v_and_or_b32 v4, 0x1ff, v5, v4
	v_lshrrev_b32_e32 v6, 8, v3
	v_bfe_u32 v7, v3, 20, 11
	v_lshrrev_b32_e32 v8, 8, v5
	v_cmp_ne_u32_e32 vcc_lo, 0, v2
	v_bfe_u32 v9, v5, 20, 11
	v_lshrrev_b32_e32 v3, 16, v3
	v_sub_nc_u32_e32 v10, 0x3f1, v7
	v_add_nc_u32_e32 v7, 0xfffffc10, v7
	v_cndmask_b32_e64 v2, 0, 1, vcc_lo
	v_cmp_ne_u32_e32 vcc_lo, 0, v4
	v_lshrrev_b32_e32 v5, 16, v5
	v_and_or_b32 v2, 0xffe, v6, v2
	v_cndmask_b32_e64 v4, 0, 1, vcc_lo
	v_sub_nc_u32_e32 v6, 0x3f1, v9
	v_add_nc_u32_e32 v9, 0xfffffc10, v9
	v_and_or_b32 v4, 0xffe, v8, v4
	v_med3_i32 v8, v10, 0, 13
	v_or_b32_e32 v10, 0x1000, v2
	v_med3_i32 v6, v6, 0, 13
	v_or_b32_e32 v11, 0x1000, v4
	v_lshrrev_b32_e32 v12, v8, v10
	v_lshrrev_b32_e32 v13, v6, v11
	v_lshlrev_b32_e32 v8, v8, v12
	v_lshlrev_b32_e32 v6, v6, v13
	v_cmp_ne_u32_e32 vcc_lo, v8, v10
	v_lshl_or_b32 v10, v7, 12, v2
	v_cndmask_b32_e64 v8, 0, 1, vcc_lo
	v_cmp_ne_u32_e32 vcc_lo, v6, v11
	v_lshl_or_b32 v11, v9, 12, v4
	v_or_b32_e32 v8, v12, v8
	v_cndmask_b32_e64 v6, 0, 1, vcc_lo
	v_cmp_gt_i32_e32 vcc_lo, 1, v7
	v_or_b32_e32 v6, v13, v6
	v_cndmask_b32_e32 v8, v10, v8, vcc_lo
	v_cmp_gt_i32_e32 vcc_lo, 1, v9
	v_and_b32_e32 v10, 7, v8
	v_cndmask_b32_e32 v6, v11, v6, vcc_lo
	v_cmp_ne_u32_e32 vcc_lo, 0, v2
	v_lshrrev_b32_e32 v8, 2, v8
	v_cmp_eq_u32_e64 s0, 3, v10
	v_and_b32_e32 v11, 7, v6
	v_cndmask_b32_e64 v2, 0, 1, vcc_lo
	v_cmp_ne_u32_e32 vcc_lo, 0, v4
	v_lshrrev_b32_e32 v6, 2, v6
	v_cmp_lt_i32_e64 s1, 5, v11
	v_cmp_eq_u32_e64 s2, 3, v11
	v_cndmask_b32_e64 v4, 0, 1, vcc_lo
	v_cmp_lt_i32_e32 vcc_lo, 5, v10
	v_lshl_or_b32 v2, v2, 9, 0x7c00
	v_lshl_or_b32 v4, v4, 9, 0x7c00
	s_or_b32 vcc_lo, s0, vcc_lo
	v_add_co_ci_u32_e32 v8, vcc_lo, 0, v8, vcc_lo
	s_or_b32 vcc_lo, s2, s1
	v_add_co_ci_u32_e32 v6, vcc_lo, 0, v6, vcc_lo
	v_cmp_gt_i32_e32 vcc_lo, 31, v7
	v_cndmask_b32_e32 v8, 0x7c00, v8, vcc_lo
	v_cmp_gt_i32_e32 vcc_lo, 31, v9
	v_cndmask_b32_e32 v6, 0x7c00, v6, vcc_lo
	v_cmp_eq_u32_e32 vcc_lo, 0x40f, v7
	v_cndmask_b32_e32 v2, v8, v2, vcc_lo
	v_cmp_eq_u32_e32 vcc_lo, 0x40f, v9
	v_and_or_b32 v2, 0x8000, v3, v2
	v_cndmask_b32_e32 v4, v6, v4, vcc_lo
	v_add_co_u32 v0, vcc_lo, v0, s4
	v_add_co_ci_u32_e32 v1, vcc_lo, s3, v1, vcc_lo
	v_and_or_b32 v3, 0x8000, v5, v4
	v_and_b32_e32 v2, 0xffff, v2
	v_lshl_or_b32 v2, v3, 16, v2
	global_store_dword v[0:1], v2, off
.LBB0_23:
	s_endpgm
	.section	.rodata,"a",@progbits
	.p2align	6, 0x0
	.amdhsa_kernel bluestein_single_back_len1989_dim1_half_op_CI_CI
		.amdhsa_group_segment_fixed_size 7956
		.amdhsa_private_segment_fixed_size 0
		.amdhsa_kernarg_size 104
		.amdhsa_user_sgpr_count 6
		.amdhsa_user_sgpr_private_segment_buffer 1
		.amdhsa_user_sgpr_dispatch_ptr 0
		.amdhsa_user_sgpr_queue_ptr 0
		.amdhsa_user_sgpr_kernarg_segment_ptr 1
		.amdhsa_user_sgpr_dispatch_id 0
		.amdhsa_user_sgpr_flat_scratch_init 0
		.amdhsa_user_sgpr_private_segment_size 0
		.amdhsa_wavefront_size32 1
		.amdhsa_uses_dynamic_stack 0
		.amdhsa_system_sgpr_private_segment_wavefront_offset 0
		.amdhsa_system_sgpr_workgroup_id_x 1
		.amdhsa_system_sgpr_workgroup_id_y 0
		.amdhsa_system_sgpr_workgroup_id_z 0
		.amdhsa_system_sgpr_workgroup_info 0
		.amdhsa_system_vgpr_workitem_id 0
		.amdhsa_next_free_vgpr 239
		.amdhsa_next_free_sgpr 16
		.amdhsa_reserve_vcc 1
		.amdhsa_reserve_flat_scratch 0
		.amdhsa_float_round_mode_32 0
		.amdhsa_float_round_mode_16_64 0
		.amdhsa_float_denorm_mode_32 3
		.amdhsa_float_denorm_mode_16_64 3
		.amdhsa_dx10_clamp 1
		.amdhsa_ieee_mode 1
		.amdhsa_fp16_overflow 0
		.amdhsa_workgroup_processor_mode 1
		.amdhsa_memory_ordered 1
		.amdhsa_forward_progress 0
		.amdhsa_shared_vgpr_count 0
		.amdhsa_exception_fp_ieee_invalid_op 0
		.amdhsa_exception_fp_denorm_src 0
		.amdhsa_exception_fp_ieee_div_zero 0
		.amdhsa_exception_fp_ieee_overflow 0
		.amdhsa_exception_fp_ieee_underflow 0
		.amdhsa_exception_fp_ieee_inexact 0
		.amdhsa_exception_int_div_zero 0
	.end_amdhsa_kernel
	.text
.Lfunc_end0:
	.size	bluestein_single_back_len1989_dim1_half_op_CI_CI, .Lfunc_end0-bluestein_single_back_len1989_dim1_half_op_CI_CI
                                        ; -- End function
	.section	.AMDGPU.csdata,"",@progbits
; Kernel info:
; codeLenInByte = 35128
; NumSgprs: 18
; NumVgprs: 239
; ScratchSize: 0
; MemoryBound: 0
; FloatMode: 240
; IeeeMode: 1
; LDSByteSize: 7956 bytes/workgroup (compile time only)
; SGPRBlocks: 2
; VGPRBlocks: 29
; NumSGPRsForWavesPerEU: 18
; NumVGPRsForWavesPerEU: 239
; Occupancy: 4
; WaveLimiterHint : 1
; COMPUTE_PGM_RSRC2:SCRATCH_EN: 0
; COMPUTE_PGM_RSRC2:USER_SGPR: 6
; COMPUTE_PGM_RSRC2:TRAP_HANDLER: 0
; COMPUTE_PGM_RSRC2:TGID_X_EN: 1
; COMPUTE_PGM_RSRC2:TGID_Y_EN: 0
; COMPUTE_PGM_RSRC2:TGID_Z_EN: 0
; COMPUTE_PGM_RSRC2:TIDIG_COMP_CNT: 0
	.text
	.p2alignl 6, 3214868480
	.fill 48, 4, 3214868480
	.type	__hip_cuid_ea9baa7141020de0,@object ; @__hip_cuid_ea9baa7141020de0
	.section	.bss,"aw",@nobits
	.globl	__hip_cuid_ea9baa7141020de0
__hip_cuid_ea9baa7141020de0:
	.byte	0                               ; 0x0
	.size	__hip_cuid_ea9baa7141020de0, 1

	.ident	"AMD clang version 19.0.0git (https://github.com/RadeonOpenCompute/llvm-project roc-6.4.0 25133 c7fe45cf4b819c5991fe208aaa96edf142730f1d)"
	.section	".note.GNU-stack","",@progbits
	.addrsig
	.addrsig_sym __hip_cuid_ea9baa7141020de0
	.amdgpu_metadata
---
amdhsa.kernels:
  - .args:
      - .actual_access:  read_only
        .address_space:  global
        .offset:         0
        .size:           8
        .value_kind:     global_buffer
      - .actual_access:  read_only
        .address_space:  global
        .offset:         8
        .size:           8
        .value_kind:     global_buffer
      - .actual_access:  read_only
        .address_space:  global
        .offset:         16
        .size:           8
        .value_kind:     global_buffer
      - .actual_access:  read_only
        .address_space:  global
        .offset:         24
        .size:           8
        .value_kind:     global_buffer
      - .actual_access:  read_only
        .address_space:  global
        .offset:         32
        .size:           8
        .value_kind:     global_buffer
      - .offset:         40
        .size:           8
        .value_kind:     by_value
      - .address_space:  global
        .offset:         48
        .size:           8
        .value_kind:     global_buffer
      - .address_space:  global
        .offset:         56
        .size:           8
        .value_kind:     global_buffer
      - .address_space:  global
        .offset:         64
        .size:           8
        .value_kind:     global_buffer
      - .address_space:  global
        .offset:         72
        .size:           8
        .value_kind:     global_buffer
      - .offset:         80
        .size:           4
        .value_kind:     by_value
      - .address_space:  global
        .offset:         88
        .size:           8
        .value_kind:     global_buffer
      - .address_space:  global
        .offset:         96
        .size:           8
        .value_kind:     global_buffer
    .group_segment_fixed_size: 7956
    .kernarg_segment_align: 8
    .kernarg_segment_size: 104
    .language:       OpenCL C
    .language_version:
      - 2
      - 0
    .max_flat_workgroup_size: 153
    .name:           bluestein_single_back_len1989_dim1_half_op_CI_CI
    .private_segment_fixed_size: 0
    .sgpr_count:     18
    .sgpr_spill_count: 0
    .symbol:         bluestein_single_back_len1989_dim1_half_op_CI_CI.kd
    .uniform_work_group_size: 1
    .uses_dynamic_stack: false
    .vgpr_count:     239
    .vgpr_spill_count: 0
    .wavefront_size: 32
    .workgroup_processor_mode: 1
amdhsa.target:   amdgcn-amd-amdhsa--gfx1030
amdhsa.version:
  - 1
  - 2
...

	.end_amdgpu_metadata
